;; amdgpu-corpus repo=pytorch/pytorch kind=compiled arch=gfx1100 opt=O3
	.text
	.amdgcn_target "amdgcn-amd-amdhsa--gfx1100"
	.amdhsa_code_object_version 6
	.section	.text._ZN2at6native12cross_kernelIh16OffsetCalculatorILi3EjLb0EElEEviPT_PKS4_S7_T0_T1_S9_S9_,"axG",@progbits,_ZN2at6native12cross_kernelIh16OffsetCalculatorILi3EjLb0EElEEviPT_PKS4_S7_T0_T1_S9_S9_,comdat
	.protected	_ZN2at6native12cross_kernelIh16OffsetCalculatorILi3EjLb0EElEEviPT_PKS4_S7_T0_T1_S9_S9_ ; -- Begin function _ZN2at6native12cross_kernelIh16OffsetCalculatorILi3EjLb0EElEEviPT_PKS4_S7_T0_T1_S9_S9_
	.globl	_ZN2at6native12cross_kernelIh16OffsetCalculatorILi3EjLb0EElEEviPT_PKS4_S7_T0_T1_S9_S9_
	.p2align	8
	.type	_ZN2at6native12cross_kernelIh16OffsetCalculatorILi3EjLb0EElEEviPT_PKS4_S7_T0_T1_S9_S9_,@function
_ZN2at6native12cross_kernelIh16OffsetCalculatorILi3EjLb0EElEEviPT_PKS4_S7_T0_T1_S9_S9_: ; @_ZN2at6native12cross_kernelIh16OffsetCalculatorILi3EjLb0EElEEviPT_PKS4_S7_T0_T1_S9_S9_
; %bb.0:
	s_clause 0x1
	s_load_b32 s2, s[0:1], 0x0
	s_load_b32 s4, s[0:1], 0x1cc
	v_mov_b32_e32 v1, 0
	s_waitcnt lgkmcnt(0)
	s_ashr_i32 s3, s2, 31
	s_add_u32 s20, s0, 0x1c0
	s_addc_u32 s21, s1, 0
	s_and_b32 s34, s4, 0xffff
	s_mov_b32 s4, exec_lo
	v_mad_u64_u32 v[2:3], null, s34, s15, v[0:1]
	s_delay_alu instid0(VALU_DEP_1)
	v_cmpx_gt_i64_e64 s[2:3], v[2:3]
	s_cbranch_execz .LBB0_13
; %bb.1:
	s_clause 0x4
	s_load_b256 s[4:11], s[0:1], 0x20
	s_load_b64 s[24:25], s[0:1], 0x1b8
	s_load_b128 s[12:15], s[0:1], 0x8
	s_load_b64 s[26:27], s[0:1], 0x18
	s_load_b128 s[16:19], s[0:1], 0x1a8
	s_load_b32 s35, s[20:21], 0x0
	s_clause 0x1
	s_load_b128 s[20:23], s[0:1], 0xe4
	s_load_b64 s[28:29], s[0:1], 0xf4
	s_waitcnt lgkmcnt(0)
	s_mov_b32 s11, 0
	s_add_i32 s30, s4, -1
	s_delay_alu instid0(SALU_CYCLE_1)
	s_cmp_gt_u32 s30, 1
	s_cselect_b32 s33, -1, 0
	s_cmp_lg_u32 s4, 0
	s_mul_i32 s39, s35, s34
	s_cselect_b32 s36, -1, 0
	s_min_u32 s38, s30, 15
	s_cmp_gt_u32 s4, 1
	s_cselect_b32 s4, -1, 0
	s_add_i32 s37, s38, 1
	s_lshl_b64 s[30:31], s[24:25], 1
	s_and_b32 s37, s37, 30
	s_bitcmp0_b32 s38, 0
	s_cselect_b32 s38, -1, 0
	s_add_u32 s34, s0, 12
	s_addc_u32 s35, s1, 0
	s_branch .LBB0_3
.LBB0_2:                                ;   in Loop: Header=BB0_3 Depth=1
	s_delay_alu instid0(VALU_DEP_1) | instskip(NEXT) | instid1(VALU_DEP_1)
	v_add_co_u32 v5, s0, s14, v4
	v_add_co_ci_u32_e64 v6, null, s15, 0, s0
	s_delay_alu instid0(VALU_DEP_3) | instskip(NEXT) | instid1(VALU_DEP_3)
	v_add_co_u32 v9, s0, s26, v1
	v_add_co_u32 v5, vcc_lo, v5, s18
	v_add_co_ci_u32_e64 v10, null, s27, 0, s0
	s_delay_alu instid0(VALU_DEP_4) | instskip(NEXT) | instid1(VALU_DEP_4)
	v_add_co_ci_u32_e32 v6, vcc_lo, s19, v6, vcc_lo
	v_add_co_u32 v7, vcc_lo, v9, s30
	s_delay_alu instid0(VALU_DEP_3)
	v_add_co_ci_u32_e32 v8, vcc_lo, s31, v10, vcc_lo
	v_add_co_u32 v9, vcc_lo, v9, s24
	v_add_co_ci_u32_e32 v10, vcc_lo, s25, v10, vcc_lo
	global_load_u8 v11, v[5:6], off
	v_add_co_u32 v5, vcc_lo, v5, s18
	v_add_co_ci_u32_e32 v6, vcc_lo, s19, v6, vcc_lo
	global_load_u8 v7, v[7:8], off
	global_load_u8 v8, v4, s[14:15]
	s_clause 0x1
	global_load_u8 v9, v[9:10], off
	global_load_u8 v1, v1, s[26:27]
	global_load_u8 v6, v[5:6], off
	v_add_co_u32 v4, s0, s12, v0
	v_add_co_u32 v2, vcc_lo, v2, s39
	v_add_co_ci_u32_e64 v5, null, s13, 0, s0
	v_add_co_ci_u32_e32 v3, vcc_lo, 0, v3, vcc_lo
	s_delay_alu instid0(VALU_DEP_4) | instskip(NEXT) | instid1(VALU_DEP_3)
	v_add_co_u32 v4, vcc_lo, v4, s16
	v_add_co_ci_u32_e32 v5, vcc_lo, s17, v5, vcc_lo
	s_delay_alu instid0(VALU_DEP_3)
	v_cmp_le_i64_e32 vcc_lo, s[2:3], v[2:3]
	s_or_b32 s11, vcc_lo, s11
	s_waitcnt vmcnt(4)
	v_mul_lo_u16 v10, v7, v11
	s_waitcnt vmcnt(3)
	v_mul_lo_u16 v12, v8, v7
	;; [unrolled: 2-line block ×5, first 2 shown]
	v_mul_lo_u16 v1, v1, v6
	v_add_co_u32 v6, s0, v4, s16
	s_delay_alu instid0(VALU_DEP_1) | instskip(NEXT) | instid1(VALU_DEP_4)
	v_add_co_ci_u32_e64 v7, s0, s17, v5, s0
	v_sub_nc_u16 v9, v10, v9
	s_delay_alu instid0(VALU_DEP_4)
	v_sub_nc_u16 v1, v1, v12
	v_sub_nc_u16 v8, v8, v11
	s_clause 0x2
	global_store_b8 v0, v9, s[12:13]
	global_store_b8 v[4:5], v1, off
	global_store_b8 v[6:7], v8, off
	s_and_not1_b32 exec_lo, exec_lo, s11
	s_cbranch_execz .LBB0_13
.LBB0_3:                                ; =>This Loop Header: Depth=1
                                        ;     Child Loop BB0_6 Depth 2
	s_and_not1_b32 vcc_lo, exec_lo, s33
	s_cbranch_vccnz .LBB0_9
; %bb.4:                                ;   in Loop: Header=BB0_3 Depth=1
	v_dual_mov_b32 v0, 0 :: v_dual_mov_b32 v1, 0
	v_mov_b32_e32 v4, 0
	s_and_not1_b32 vcc_lo, exec_lo, s36
	s_mov_b32 s40, 0
	s_cbranch_vccnz .LBB0_10
; %bb.5:                                ;   in Loop: Header=BB0_3 Depth=1
	v_dual_mov_b32 v1, 0 :: v_dual_mov_b32 v4, 0
	v_dual_mov_b32 v0, 0 :: v_dual_mov_b32 v5, v2
	s_mov_b32 s41, s37
	s_mov_b64 s[0:1], s[34:35]
	s_set_inst_prefetch_distance 0x1
	.p2align	6
.LBB0_6:                                ;   Parent Loop BB0_3 Depth=1
                                        ; =>  This Inner Loop Header: Depth=2
	s_clause 0x2
	s_load_b128 s[44:47], s[0:1], 0x18
	s_load_b64 s[42:43], s[0:1], 0x28
	s_load_b128 s[48:51], s[0:1], 0xd8
	s_waitcnt lgkmcnt(0)
	v_mul_hi_u32 v6, s45, v5
	s_delay_alu instid0(VALU_DEP_1) | instskip(NEXT) | instid1(VALU_DEP_1)
	v_add_nc_u32_e32 v6, v5, v6
	v_lshrrev_b32_e32 v6, s46, v6
	s_delay_alu instid0(VALU_DEP_1)
	v_mul_hi_u32 v7, s42, v6
	v_mul_lo_u32 v8, v6, s44
	s_load_b64 s[44:45], s[0:1], 0xe8
	s_add_u32 s0, s0, 24
	s_addc_u32 s1, s1, 0
	s_add_i32 s41, s41, -2
	s_delay_alu instid0(SALU_CYCLE_1) | instskip(NEXT) | instid1(VALU_DEP_2)
	s_cmp_lg_u32 s41, 0
	v_add_nc_u32_e32 v7, v6, v7
	s_delay_alu instid0(VALU_DEP_2) | instskip(NEXT) | instid1(VALU_DEP_2)
	v_sub_nc_u32_e32 v8, v5, v8
	v_lshrrev_b32_e32 v5, s43, v7
	s_delay_alu instid0(VALU_DEP_2) | instskip(NEXT) | instid1(VALU_DEP_2)
	v_mul_lo_u32 v9, v8, s48
	v_mul_lo_u32 v7, v5, s47
	s_delay_alu instid0(VALU_DEP_1) | instskip(SKIP_2) | instid1(VALU_DEP_3)
	v_sub_nc_u32_e32 v6, v6, v7
	v_mul_lo_u32 v7, v8, s49
	v_mul_lo_u32 v8, v8, s50
	;; [unrolled: 1-line block ×3, first 2 shown]
	s_waitcnt lgkmcnt(0)
	v_mul_lo_u32 v11, v6, s44
	v_mul_lo_u32 v6, v6, s45
	s_delay_alu instid0(VALU_DEP_3) | instskip(NEXT) | instid1(VALU_DEP_3)
	v_add3_u32 v0, v9, v0, v10
	v_add3_u32 v4, v7, v4, v11
	s_delay_alu instid0(VALU_DEP_3)
	v_add3_u32 v1, v8, v1, v6
	s_cbranch_scc1 .LBB0_6
; %bb.7:                                ;   in Loop: Header=BB0_3 Depth=1
	s_set_inst_prefetch_distance 0x2
	s_and_not1_b32 vcc_lo, exec_lo, s38
	s_cbranch_vccnz .LBB0_10
; %bb.8:                                ;   in Loop: Header=BB0_3 Depth=1
	s_clause 0x3
	s_load_b64 s[42:43], s[0:1], 0x18
	s_load_b32 s41, s[0:1], 0x20
	s_load_b64 s[44:45], s[0:1], 0xd8
	s_load_b32 s0, s[0:1], 0xe0
	s_waitcnt lgkmcnt(0)
	v_mul_hi_u32 v6, s43, v5
	s_delay_alu instid0(VALU_DEP_1) | instskip(NEXT) | instid1(VALU_DEP_1)
	v_add_nc_u32_e32 v6, v5, v6
	v_lshrrev_b32_e32 v6, s41, v6
	s_delay_alu instid0(VALU_DEP_1) | instskip(NEXT) | instid1(VALU_DEP_1)
	v_mul_lo_u32 v6, v6, s42
	v_sub_nc_u32_e32 v9, v5, v6
	s_delay_alu instid0(VALU_DEP_1) | instskip(NEXT) | instid1(VALU_DEP_1)
	v_mad_u64_u32 v[5:6], null, v9, s44, v[0:1]
	v_mad_u64_u32 v[6:7], null, v9, s45, v[4:5]
	;; [unrolled: 1-line block ×3, first 2 shown]
	v_mov_b32_e32 v0, v5
	s_delay_alu instid0(VALU_DEP_2)
	v_dual_mov_b32 v4, v6 :: v_dual_mov_b32 v1, v7
	s_branch .LBB0_10
.LBB0_9:                                ;   in Loop: Header=BB0_3 Depth=1
	s_mov_b32 s40, -1
                                        ; implicit-def: $vgpr0
                                        ; implicit-def: $vgpr4
                                        ; implicit-def: $vgpr1
.LBB0_10:                               ;   in Loop: Header=BB0_3 Depth=1
	s_delay_alu instid0(SALU_CYCLE_1)
	s_and_not1_b32 vcc_lo, exec_lo, s40
	s_cbranch_vccnz .LBB0_2
; %bb.11:                               ;   in Loop: Header=BB0_3 Depth=1
	v_mul_hi_u32 v0, v2, s6
	s_and_not1_b32 vcc_lo, exec_lo, s4
	s_delay_alu instid0(VALU_DEP_1) | instskip(NEXT) | instid1(VALU_DEP_1)
	v_add_nc_u32_e32 v0, v0, v2
	v_lshrrev_b32_e32 v5, s7, v0
	s_delay_alu instid0(VALU_DEP_1) | instskip(NEXT) | instid1(VALU_DEP_1)
	v_mul_lo_u32 v0, v5, s5
	v_sub_nc_u32_e32 v1, v2, v0
	s_delay_alu instid0(VALU_DEP_1)
	v_mul_lo_u32 v0, v1, s20
	v_mul_lo_u32 v4, v1, s21
	;; [unrolled: 1-line block ×3, first 2 shown]
	s_cbranch_vccnz .LBB0_2
; %bb.12:                               ;   in Loop: Header=BB0_3 Depth=1
	v_mul_hi_u32 v6, s9, v5
	s_delay_alu instid0(VALU_DEP_1) | instskip(NEXT) | instid1(VALU_DEP_1)
	v_add_nc_u32_e32 v6, v5, v6
	v_lshrrev_b32_e32 v6, s10, v6
	s_delay_alu instid0(VALU_DEP_1) | instskip(NEXT) | instid1(VALU_DEP_1)
	v_mul_lo_u32 v6, v6, s8
	v_sub_nc_u32_e32 v9, v5, v6
	s_delay_alu instid0(VALU_DEP_1) | instskip(NEXT) | instid1(VALU_DEP_1)
	v_mad_u64_u32 v[5:6], null, v9, s23, v[0:1]
	v_mad_u64_u32 v[6:7], null, v9, s28, v[4:5]
	;; [unrolled: 1-line block ×3, first 2 shown]
	v_mov_b32_e32 v0, v5
	s_delay_alu instid0(VALU_DEP_2)
	v_dual_mov_b32 v4, v6 :: v_dual_mov_b32 v1, v7
	s_branch .LBB0_2
.LBB0_13:
	s_nop 0
	s_sendmsg sendmsg(MSG_DEALLOC_VGPRS)
	s_endpgm
	.section	.rodata,"a",@progbits
	.p2align	6, 0x0
	.amdhsa_kernel _ZN2at6native12cross_kernelIh16OffsetCalculatorILi3EjLb0EElEEviPT_PKS4_S7_T0_T1_S9_S9_
		.amdhsa_group_segment_fixed_size 0
		.amdhsa_private_segment_fixed_size 0
		.amdhsa_kernarg_size 704
		.amdhsa_user_sgpr_count 15
		.amdhsa_user_sgpr_dispatch_ptr 0
		.amdhsa_user_sgpr_queue_ptr 0
		.amdhsa_user_sgpr_kernarg_segment_ptr 1
		.amdhsa_user_sgpr_dispatch_id 0
		.amdhsa_user_sgpr_private_segment_size 0
		.amdhsa_wavefront_size32 1
		.amdhsa_uses_dynamic_stack 0
		.amdhsa_enable_private_segment 0
		.amdhsa_system_sgpr_workgroup_id_x 1
		.amdhsa_system_sgpr_workgroup_id_y 0
		.amdhsa_system_sgpr_workgroup_id_z 0
		.amdhsa_system_sgpr_workgroup_info 0
		.amdhsa_system_vgpr_workitem_id 0
		.amdhsa_next_free_vgpr 13
		.amdhsa_next_free_sgpr 52
		.amdhsa_reserve_vcc 1
		.amdhsa_float_round_mode_32 0
		.amdhsa_float_round_mode_16_64 0
		.amdhsa_float_denorm_mode_32 3
		.amdhsa_float_denorm_mode_16_64 3
		.amdhsa_dx10_clamp 1
		.amdhsa_ieee_mode 1
		.amdhsa_fp16_overflow 0
		.amdhsa_workgroup_processor_mode 1
		.amdhsa_memory_ordered 1
		.amdhsa_forward_progress 0
		.amdhsa_shared_vgpr_count 0
		.amdhsa_exception_fp_ieee_invalid_op 0
		.amdhsa_exception_fp_denorm_src 0
		.amdhsa_exception_fp_ieee_div_zero 0
		.amdhsa_exception_fp_ieee_overflow 0
		.amdhsa_exception_fp_ieee_underflow 0
		.amdhsa_exception_fp_ieee_inexact 0
		.amdhsa_exception_int_div_zero 0
	.end_amdhsa_kernel
	.section	.text._ZN2at6native12cross_kernelIh16OffsetCalculatorILi3EjLb0EElEEviPT_PKS4_S7_T0_T1_S9_S9_,"axG",@progbits,_ZN2at6native12cross_kernelIh16OffsetCalculatorILi3EjLb0EElEEviPT_PKS4_S7_T0_T1_S9_S9_,comdat
.Lfunc_end0:
	.size	_ZN2at6native12cross_kernelIh16OffsetCalculatorILi3EjLb0EElEEviPT_PKS4_S7_T0_T1_S9_S9_, .Lfunc_end0-_ZN2at6native12cross_kernelIh16OffsetCalculatorILi3EjLb0EElEEviPT_PKS4_S7_T0_T1_S9_S9_
                                        ; -- End function
	.section	.AMDGPU.csdata,"",@progbits
; Kernel info:
; codeLenInByte = 1192
; NumSgprs: 54
; NumVgprs: 13
; ScratchSize: 0
; MemoryBound: 0
; FloatMode: 240
; IeeeMode: 1
; LDSByteSize: 0 bytes/workgroup (compile time only)
; SGPRBlocks: 6
; VGPRBlocks: 1
; NumSGPRsForWavesPerEU: 54
; NumVGPRsForWavesPerEU: 13
; Occupancy: 16
; WaveLimiterHint : 1
; COMPUTE_PGM_RSRC2:SCRATCH_EN: 0
; COMPUTE_PGM_RSRC2:USER_SGPR: 15
; COMPUTE_PGM_RSRC2:TRAP_HANDLER: 0
; COMPUTE_PGM_RSRC2:TGID_X_EN: 1
; COMPUTE_PGM_RSRC2:TGID_Y_EN: 0
; COMPUTE_PGM_RSRC2:TGID_Z_EN: 0
; COMPUTE_PGM_RSRC2:TIDIG_COMP_CNT: 0
	.section	.text._ZN2at6native12cross_kernelIh16OffsetCalculatorILi3EjLb0EEiEEviPT_PKS4_S7_T0_T1_S9_S9_,"axG",@progbits,_ZN2at6native12cross_kernelIh16OffsetCalculatorILi3EjLb0EEiEEviPT_PKS4_S7_T0_T1_S9_S9_,comdat
	.protected	_ZN2at6native12cross_kernelIh16OffsetCalculatorILi3EjLb0EEiEEviPT_PKS4_S7_T0_T1_S9_S9_ ; -- Begin function _ZN2at6native12cross_kernelIh16OffsetCalculatorILi3EjLb0EEiEEviPT_PKS4_S7_T0_T1_S9_S9_
	.globl	_ZN2at6native12cross_kernelIh16OffsetCalculatorILi3EjLb0EEiEEviPT_PKS4_S7_T0_T1_S9_S9_
	.p2align	8
	.type	_ZN2at6native12cross_kernelIh16OffsetCalculatorILi3EjLb0EEiEEviPT_PKS4_S7_T0_T1_S9_S9_,@function
_ZN2at6native12cross_kernelIh16OffsetCalculatorILi3EjLb0EEiEEviPT_PKS4_S7_T0_T1_S9_S9_: ; @_ZN2at6native12cross_kernelIh16OffsetCalculatorILi3EjLb0EEiEEviPT_PKS4_S7_T0_T1_S9_S9_
; %bb.0:
	s_clause 0x1
	s_load_b32 s2, s[0:1], 0x0
	s_load_b32 s4, s[0:1], 0x1bc
	v_mov_b32_e32 v1, 0
	s_waitcnt lgkmcnt(0)
	s_ashr_i32 s3, s2, 31
	s_add_u32 s20, s0, 0x1b0
	s_addc_u32 s21, s1, 0
	s_and_b32 s28, s4, 0xffff
	s_mov_b32 s4, exec_lo
	v_mad_u64_u32 v[2:3], null, s28, s15, v[0:1]
	s_delay_alu instid0(VALU_DEP_1)
	v_cmpx_gt_i64_e64 s[2:3], v[2:3]
	s_cbranch_execz .LBB1_13
; %bb.1:
	s_clause 0x3
	s_load_b256 s[4:11], s[0:1], 0x20
	s_load_b128 s[12:15], s[0:1], 0x1a4
	s_load_b128 s[16:19], s[0:1], 0x8
	s_load_b64 s[24:25], s[0:1], 0x18
	s_load_b32 s29, s[20:21], 0x0
	s_clause 0x1
	s_load_b128 s[20:23], s[0:1], 0xe4
	s_load_b64 s[26:27], s[0:1], 0xf4
	s_waitcnt lgkmcnt(0)
	s_mov_b32 s11, 0
	s_add_i32 s34, s4, -1
	s_mov_b32 s15, s13
	s_cmp_gt_u32 s34, 1
	s_mov_b32 s31, s12
	s_cselect_b32 s30, -1, 0
	s_cmp_lg_u32 s4, 0
	s_mul_i32 s41, s29, s28
	s_cselect_b32 s33, -1, 0
	s_min_u32 s40, s34, 15
	s_cmp_gt_u32 s4, 1
	s_cselect_b32 s4, -1, 0
	s_lshl_b32 s35, s14, 1
	s_add_i32 s39, s40, 1
	s_ashr_i32 s34, s13, 31
	s_ashr_i32 s36, s14, 31
	;; [unrolled: 1-line block ×4, first 2 shown]
	s_and_b32 s39, s39, 30
	s_bitcmp0_b32 s40, 0
	s_cselect_b32 s40, -1, 0
	s_add_u32 s28, s0, 12
	s_addc_u32 s29, s1, 0
	s_branch .LBB1_3
.LBB1_2:                                ;   in Loop: Header=BB1_3 Depth=1
	s_delay_alu instid0(VALU_DEP_1) | instskip(NEXT) | instid1(VALU_DEP_1)
	v_add_co_u32 v5, s0, s18, v4
	v_add_co_ci_u32_e64 v6, null, s19, 0, s0
	s_delay_alu instid0(VALU_DEP_3) | instskip(NEXT) | instid1(VALU_DEP_3)
	v_add_co_u32 v9, s0, s24, v1
	v_add_co_u32 v5, vcc_lo, v5, s15
	v_add_co_ci_u32_e64 v10, null, s25, 0, s0
	s_delay_alu instid0(VALU_DEP_4) | instskip(NEXT) | instid1(VALU_DEP_4)
	v_add_co_ci_u32_e32 v6, vcc_lo, s34, v6, vcc_lo
	v_add_co_u32 v7, vcc_lo, v9, s35
	s_delay_alu instid0(VALU_DEP_3)
	v_add_co_ci_u32_e32 v8, vcc_lo, s38, v10, vcc_lo
	v_add_co_u32 v9, vcc_lo, v9, s14
	v_add_co_ci_u32_e32 v10, vcc_lo, s36, v10, vcc_lo
	global_load_u8 v11, v[5:6], off
	v_add_co_u32 v5, vcc_lo, v5, s13
	v_add_co_ci_u32_e32 v6, vcc_lo, s34, v6, vcc_lo
	global_load_u8 v7, v[7:8], off
	global_load_u8 v8, v4, s[18:19]
	s_clause 0x1
	global_load_u8 v9, v[9:10], off
	global_load_u8 v1, v1, s[24:25]
	global_load_u8 v6, v[5:6], off
	v_add_co_u32 v4, s0, s16, v0
	v_add_co_u32 v2, vcc_lo, v2, s41
	v_add_co_ci_u32_e64 v5, null, s17, 0, s0
	v_add_co_ci_u32_e32 v3, vcc_lo, 0, v3, vcc_lo
	s_delay_alu instid0(VALU_DEP_4) | instskip(NEXT) | instid1(VALU_DEP_3)
	v_add_co_u32 v4, vcc_lo, v4, s31
	v_add_co_ci_u32_e32 v5, vcc_lo, s37, v5, vcc_lo
	s_delay_alu instid0(VALU_DEP_3)
	v_cmp_le_i64_e32 vcc_lo, s[2:3], v[2:3]
	s_or_b32 s11, vcc_lo, s11
	s_waitcnt vmcnt(4)
	v_mul_lo_u16 v10, v7, v11
	s_waitcnt vmcnt(3)
	v_mul_lo_u16 v12, v8, v7
	;; [unrolled: 2-line block ×5, first 2 shown]
	v_mul_lo_u16 v1, v1, v6
	v_add_co_u32 v6, s0, v4, s12
	s_delay_alu instid0(VALU_DEP_1) | instskip(NEXT) | instid1(VALU_DEP_4)
	v_add_co_ci_u32_e64 v7, s0, s37, v5, s0
	v_sub_nc_u16 v9, v10, v9
	s_delay_alu instid0(VALU_DEP_4)
	v_sub_nc_u16 v1, v1, v12
	v_sub_nc_u16 v8, v8, v11
	s_clause 0x2
	global_store_b8 v0, v9, s[16:17]
	global_store_b8 v[4:5], v1, off
	global_store_b8 v[6:7], v8, off
	s_and_not1_b32 exec_lo, exec_lo, s11
	s_cbranch_execz .LBB1_13
.LBB1_3:                                ; =>This Loop Header: Depth=1
                                        ;     Child Loop BB1_6 Depth 2
	s_and_not1_b32 vcc_lo, exec_lo, s30
	s_cbranch_vccnz .LBB1_9
; %bb.4:                                ;   in Loop: Header=BB1_3 Depth=1
	v_dual_mov_b32 v0, 0 :: v_dual_mov_b32 v1, 0
	v_mov_b32_e32 v4, 0
	s_and_not1_b32 vcc_lo, exec_lo, s33
	s_mov_b32 s42, 0
	s_cbranch_vccnz .LBB1_10
; %bb.5:                                ;   in Loop: Header=BB1_3 Depth=1
	v_dual_mov_b32 v1, 0 :: v_dual_mov_b32 v4, 0
	v_dual_mov_b32 v0, 0 :: v_dual_mov_b32 v5, v2
	s_mov_b32 s43, s39
	s_mov_b64 s[0:1], s[28:29]
	s_set_inst_prefetch_distance 0x1
	.p2align	6
.LBB1_6:                                ;   Parent Loop BB1_3 Depth=1
                                        ; =>  This Inner Loop Header: Depth=2
	s_clause 0x2
	s_load_b128 s[44:47], s[0:1], 0x18
	s_load_b64 s[52:53], s[0:1], 0x28
	s_load_b128 s[48:51], s[0:1], 0xd8
	s_waitcnt lgkmcnt(0)
	v_mul_hi_u32 v6, s45, v5
	s_delay_alu instid0(VALU_DEP_1) | instskip(NEXT) | instid1(VALU_DEP_1)
	v_add_nc_u32_e32 v6, v5, v6
	v_lshrrev_b32_e32 v6, s46, v6
	s_delay_alu instid0(VALU_DEP_1)
	v_mul_hi_u32 v7, s52, v6
	v_mul_lo_u32 v8, v6, s44
	s_load_b64 s[44:45], s[0:1], 0xe8
	s_add_u32 s0, s0, 24
	s_addc_u32 s1, s1, 0
	s_add_i32 s43, s43, -2
	s_delay_alu instid0(SALU_CYCLE_1) | instskip(NEXT) | instid1(VALU_DEP_2)
	s_cmp_lg_u32 s43, 0
	v_add_nc_u32_e32 v7, v6, v7
	s_delay_alu instid0(VALU_DEP_2) | instskip(NEXT) | instid1(VALU_DEP_2)
	v_sub_nc_u32_e32 v8, v5, v8
	v_lshrrev_b32_e32 v5, s53, v7
	s_delay_alu instid0(VALU_DEP_2) | instskip(NEXT) | instid1(VALU_DEP_2)
	v_mul_lo_u32 v9, v8, s48
	v_mul_lo_u32 v7, v5, s47
	s_delay_alu instid0(VALU_DEP_1) | instskip(SKIP_2) | instid1(VALU_DEP_3)
	v_sub_nc_u32_e32 v6, v6, v7
	v_mul_lo_u32 v7, v8, s49
	v_mul_lo_u32 v8, v8, s50
	;; [unrolled: 1-line block ×3, first 2 shown]
	s_waitcnt lgkmcnt(0)
	v_mul_lo_u32 v11, v6, s44
	v_mul_lo_u32 v6, v6, s45
	s_delay_alu instid0(VALU_DEP_3) | instskip(NEXT) | instid1(VALU_DEP_3)
	v_add3_u32 v0, v9, v0, v10
	v_add3_u32 v4, v7, v4, v11
	s_delay_alu instid0(VALU_DEP_3)
	v_add3_u32 v1, v8, v1, v6
	s_cbranch_scc1 .LBB1_6
; %bb.7:                                ;   in Loop: Header=BB1_3 Depth=1
	s_set_inst_prefetch_distance 0x2
	s_and_not1_b32 vcc_lo, exec_lo, s40
	s_cbranch_vccnz .LBB1_10
; %bb.8:                                ;   in Loop: Header=BB1_3 Depth=1
	s_clause 0x3
	s_load_b64 s[44:45], s[0:1], 0x18
	s_load_b32 s43, s[0:1], 0x20
	s_load_b64 s[46:47], s[0:1], 0xd8
	s_load_b32 s0, s[0:1], 0xe0
	s_waitcnt lgkmcnt(0)
	v_mul_hi_u32 v6, s45, v5
	s_delay_alu instid0(VALU_DEP_1) | instskip(NEXT) | instid1(VALU_DEP_1)
	v_add_nc_u32_e32 v6, v5, v6
	v_lshrrev_b32_e32 v6, s43, v6
	s_delay_alu instid0(VALU_DEP_1) | instskip(NEXT) | instid1(VALU_DEP_1)
	v_mul_lo_u32 v6, v6, s44
	v_sub_nc_u32_e32 v9, v5, v6
	s_delay_alu instid0(VALU_DEP_1) | instskip(NEXT) | instid1(VALU_DEP_1)
	v_mad_u64_u32 v[5:6], null, v9, s46, v[0:1]
	v_mad_u64_u32 v[6:7], null, v9, s47, v[4:5]
	;; [unrolled: 1-line block ×3, first 2 shown]
	v_mov_b32_e32 v0, v5
	s_delay_alu instid0(VALU_DEP_2)
	v_dual_mov_b32 v4, v6 :: v_dual_mov_b32 v1, v7
	s_branch .LBB1_10
.LBB1_9:                                ;   in Loop: Header=BB1_3 Depth=1
	s_mov_b32 s42, -1
                                        ; implicit-def: $vgpr0
                                        ; implicit-def: $vgpr4
                                        ; implicit-def: $vgpr1
.LBB1_10:                               ;   in Loop: Header=BB1_3 Depth=1
	s_delay_alu instid0(SALU_CYCLE_1)
	s_and_not1_b32 vcc_lo, exec_lo, s42
	s_cbranch_vccnz .LBB1_2
; %bb.11:                               ;   in Loop: Header=BB1_3 Depth=1
	v_mul_hi_u32 v0, v2, s6
	s_and_not1_b32 vcc_lo, exec_lo, s4
	s_delay_alu instid0(VALU_DEP_1) | instskip(NEXT) | instid1(VALU_DEP_1)
	v_add_nc_u32_e32 v0, v0, v2
	v_lshrrev_b32_e32 v5, s7, v0
	s_delay_alu instid0(VALU_DEP_1) | instskip(NEXT) | instid1(VALU_DEP_1)
	v_mul_lo_u32 v0, v5, s5
	v_sub_nc_u32_e32 v1, v2, v0
	s_delay_alu instid0(VALU_DEP_1)
	v_mul_lo_u32 v0, v1, s20
	v_mul_lo_u32 v4, v1, s21
	;; [unrolled: 1-line block ×3, first 2 shown]
	s_cbranch_vccnz .LBB1_2
; %bb.12:                               ;   in Loop: Header=BB1_3 Depth=1
	v_mul_hi_u32 v6, s9, v5
	s_delay_alu instid0(VALU_DEP_1) | instskip(NEXT) | instid1(VALU_DEP_1)
	v_add_nc_u32_e32 v6, v5, v6
	v_lshrrev_b32_e32 v6, s10, v6
	s_delay_alu instid0(VALU_DEP_1) | instskip(NEXT) | instid1(VALU_DEP_1)
	v_mul_lo_u32 v6, v6, s8
	v_sub_nc_u32_e32 v9, v5, v6
	s_delay_alu instid0(VALU_DEP_1) | instskip(NEXT) | instid1(VALU_DEP_1)
	v_mad_u64_u32 v[5:6], null, v9, s23, v[0:1]
	v_mad_u64_u32 v[6:7], null, v9, s26, v[4:5]
	;; [unrolled: 1-line block ×3, first 2 shown]
	v_mov_b32_e32 v0, v5
	s_delay_alu instid0(VALU_DEP_2)
	v_dual_mov_b32 v4, v6 :: v_dual_mov_b32 v1, v7
	s_branch .LBB1_2
.LBB1_13:
	s_nop 0
	s_sendmsg sendmsg(MSG_DEALLOC_VGPRS)
	s_endpgm
	.section	.rodata,"a",@progbits
	.p2align	6, 0x0
	.amdhsa_kernel _ZN2at6native12cross_kernelIh16OffsetCalculatorILi3EjLb0EEiEEviPT_PKS4_S7_T0_T1_S9_S9_
		.amdhsa_group_segment_fixed_size 0
		.amdhsa_private_segment_fixed_size 0
		.amdhsa_kernarg_size 688
		.amdhsa_user_sgpr_count 15
		.amdhsa_user_sgpr_dispatch_ptr 0
		.amdhsa_user_sgpr_queue_ptr 0
		.amdhsa_user_sgpr_kernarg_segment_ptr 1
		.amdhsa_user_sgpr_dispatch_id 0
		.amdhsa_user_sgpr_private_segment_size 0
		.amdhsa_wavefront_size32 1
		.amdhsa_uses_dynamic_stack 0
		.amdhsa_enable_private_segment 0
		.amdhsa_system_sgpr_workgroup_id_x 1
		.amdhsa_system_sgpr_workgroup_id_y 0
		.amdhsa_system_sgpr_workgroup_id_z 0
		.amdhsa_system_sgpr_workgroup_info 0
		.amdhsa_system_vgpr_workitem_id 0
		.amdhsa_next_free_vgpr 13
		.amdhsa_next_free_sgpr 54
		.amdhsa_reserve_vcc 1
		.amdhsa_float_round_mode_32 0
		.amdhsa_float_round_mode_16_64 0
		.amdhsa_float_denorm_mode_32 3
		.amdhsa_float_denorm_mode_16_64 3
		.amdhsa_dx10_clamp 1
		.amdhsa_ieee_mode 1
		.amdhsa_fp16_overflow 0
		.amdhsa_workgroup_processor_mode 1
		.amdhsa_memory_ordered 1
		.amdhsa_forward_progress 0
		.amdhsa_shared_vgpr_count 0
		.amdhsa_exception_fp_ieee_invalid_op 0
		.amdhsa_exception_fp_denorm_src 0
		.amdhsa_exception_fp_ieee_div_zero 0
		.amdhsa_exception_fp_ieee_overflow 0
		.amdhsa_exception_fp_ieee_underflow 0
		.amdhsa_exception_fp_ieee_inexact 0
		.amdhsa_exception_int_div_zero 0
	.end_amdhsa_kernel
	.section	.text._ZN2at6native12cross_kernelIh16OffsetCalculatorILi3EjLb0EEiEEviPT_PKS4_S7_T0_T1_S9_S9_,"axG",@progbits,_ZN2at6native12cross_kernelIh16OffsetCalculatorILi3EjLb0EEiEEviPT_PKS4_S7_T0_T1_S9_S9_,comdat
.Lfunc_end1:
	.size	_ZN2at6native12cross_kernelIh16OffsetCalculatorILi3EjLb0EEiEEviPT_PKS4_S7_T0_T1_S9_S9_, .Lfunc_end1-_ZN2at6native12cross_kernelIh16OffsetCalculatorILi3EjLb0EEiEEviPT_PKS4_S7_T0_T1_S9_S9_
                                        ; -- End function
	.section	.AMDGPU.csdata,"",@progbits
; Kernel info:
; codeLenInByte = 1204
; NumSgprs: 56
; NumVgprs: 13
; ScratchSize: 0
; MemoryBound: 0
; FloatMode: 240
; IeeeMode: 1
; LDSByteSize: 0 bytes/workgroup (compile time only)
; SGPRBlocks: 6
; VGPRBlocks: 1
; NumSGPRsForWavesPerEU: 56
; NumVGPRsForWavesPerEU: 13
; Occupancy: 16
; WaveLimiterHint : 1
; COMPUTE_PGM_RSRC2:SCRATCH_EN: 0
; COMPUTE_PGM_RSRC2:USER_SGPR: 15
; COMPUTE_PGM_RSRC2:TRAP_HANDLER: 0
; COMPUTE_PGM_RSRC2:TGID_X_EN: 1
; COMPUTE_PGM_RSRC2:TGID_Y_EN: 0
; COMPUTE_PGM_RSRC2:TGID_Z_EN: 0
; COMPUTE_PGM_RSRC2:TIDIG_COMP_CNT: 0
	.section	.text._ZN2at6native12cross_kernelIa16OffsetCalculatorILi3EjLb0EElEEviPT_PKS4_S7_T0_T1_S9_S9_,"axG",@progbits,_ZN2at6native12cross_kernelIa16OffsetCalculatorILi3EjLb0EElEEviPT_PKS4_S7_T0_T1_S9_S9_,comdat
	.protected	_ZN2at6native12cross_kernelIa16OffsetCalculatorILi3EjLb0EElEEviPT_PKS4_S7_T0_T1_S9_S9_ ; -- Begin function _ZN2at6native12cross_kernelIa16OffsetCalculatorILi3EjLb0EElEEviPT_PKS4_S7_T0_T1_S9_S9_
	.globl	_ZN2at6native12cross_kernelIa16OffsetCalculatorILi3EjLb0EElEEviPT_PKS4_S7_T0_T1_S9_S9_
	.p2align	8
	.type	_ZN2at6native12cross_kernelIa16OffsetCalculatorILi3EjLb0EElEEviPT_PKS4_S7_T0_T1_S9_S9_,@function
_ZN2at6native12cross_kernelIa16OffsetCalculatorILi3EjLb0EElEEviPT_PKS4_S7_T0_T1_S9_S9_: ; @_ZN2at6native12cross_kernelIa16OffsetCalculatorILi3EjLb0EElEEviPT_PKS4_S7_T0_T1_S9_S9_
; %bb.0:
	s_clause 0x1
	s_load_b32 s2, s[0:1], 0x0
	s_load_b32 s4, s[0:1], 0x1cc
	v_mov_b32_e32 v1, 0
	s_waitcnt lgkmcnt(0)
	s_ashr_i32 s3, s2, 31
	s_add_u32 s20, s0, 0x1c0
	s_addc_u32 s21, s1, 0
	s_and_b32 s34, s4, 0xffff
	s_mov_b32 s4, exec_lo
	v_mad_u64_u32 v[2:3], null, s34, s15, v[0:1]
	s_delay_alu instid0(VALU_DEP_1)
	v_cmpx_gt_i64_e64 s[2:3], v[2:3]
	s_cbranch_execz .LBB2_13
; %bb.1:
	s_clause 0x4
	s_load_b256 s[4:11], s[0:1], 0x20
	s_load_b64 s[24:25], s[0:1], 0x1b8
	s_load_b128 s[12:15], s[0:1], 0x8
	s_load_b64 s[26:27], s[0:1], 0x18
	s_load_b128 s[16:19], s[0:1], 0x1a8
	s_load_b32 s35, s[20:21], 0x0
	s_clause 0x1
	s_load_b128 s[20:23], s[0:1], 0xe4
	s_load_b64 s[28:29], s[0:1], 0xf4
	s_waitcnt lgkmcnt(0)
	s_mov_b32 s11, 0
	s_add_i32 s30, s4, -1
	s_delay_alu instid0(SALU_CYCLE_1)
	s_cmp_gt_u32 s30, 1
	s_cselect_b32 s33, -1, 0
	s_cmp_lg_u32 s4, 0
	s_mul_i32 s39, s35, s34
	s_cselect_b32 s36, -1, 0
	s_min_u32 s38, s30, 15
	s_cmp_gt_u32 s4, 1
	s_cselect_b32 s4, -1, 0
	s_add_i32 s37, s38, 1
	s_lshl_b64 s[30:31], s[24:25], 1
	s_and_b32 s37, s37, 30
	s_bitcmp0_b32 s38, 0
	s_cselect_b32 s38, -1, 0
	s_add_u32 s34, s0, 12
	s_addc_u32 s35, s1, 0
	s_branch .LBB2_3
.LBB2_2:                                ;   in Loop: Header=BB2_3 Depth=1
	s_delay_alu instid0(VALU_DEP_1) | instskip(NEXT) | instid1(VALU_DEP_1)
	v_add_co_u32 v5, s0, s14, v4
	v_add_co_ci_u32_e64 v6, null, s15, 0, s0
	s_delay_alu instid0(VALU_DEP_3) | instskip(NEXT) | instid1(VALU_DEP_3)
	v_add_co_u32 v9, s0, s26, v1
	v_add_co_u32 v5, vcc_lo, v5, s18
	v_add_co_ci_u32_e64 v10, null, s27, 0, s0
	s_delay_alu instid0(VALU_DEP_4) | instskip(NEXT) | instid1(VALU_DEP_4)
	v_add_co_ci_u32_e32 v6, vcc_lo, s19, v6, vcc_lo
	v_add_co_u32 v7, vcc_lo, v9, s30
	s_delay_alu instid0(VALU_DEP_3)
	v_add_co_ci_u32_e32 v8, vcc_lo, s31, v10, vcc_lo
	v_add_co_u32 v9, vcc_lo, v9, s24
	v_add_co_ci_u32_e32 v10, vcc_lo, s25, v10, vcc_lo
	global_load_u8 v11, v[5:6], off
	v_add_co_u32 v5, vcc_lo, v5, s18
	v_add_co_ci_u32_e32 v6, vcc_lo, s19, v6, vcc_lo
	global_load_u8 v7, v[7:8], off
	global_load_u8 v8, v4, s[14:15]
	s_clause 0x1
	global_load_u8 v9, v[9:10], off
	global_load_u8 v1, v1, s[26:27]
	global_load_u8 v6, v[5:6], off
	v_add_co_u32 v4, s0, s12, v0
	v_add_co_u32 v2, vcc_lo, v2, s39
	v_add_co_ci_u32_e64 v5, null, s13, 0, s0
	v_add_co_ci_u32_e32 v3, vcc_lo, 0, v3, vcc_lo
	s_delay_alu instid0(VALU_DEP_4) | instskip(NEXT) | instid1(VALU_DEP_3)
	v_add_co_u32 v4, vcc_lo, v4, s16
	v_add_co_ci_u32_e32 v5, vcc_lo, s17, v5, vcc_lo
	s_delay_alu instid0(VALU_DEP_3)
	v_cmp_le_i64_e32 vcc_lo, s[2:3], v[2:3]
	s_or_b32 s11, vcc_lo, s11
	s_waitcnt vmcnt(4)
	v_mul_lo_u16 v10, v7, v11
	s_waitcnt vmcnt(3)
	v_mul_lo_u16 v12, v8, v7
	;; [unrolled: 2-line block ×5, first 2 shown]
	v_mul_lo_u16 v1, v1, v6
	v_add_co_u32 v6, s0, v4, s16
	s_delay_alu instid0(VALU_DEP_1) | instskip(NEXT) | instid1(VALU_DEP_4)
	v_add_co_ci_u32_e64 v7, s0, s17, v5, s0
	v_sub_nc_u16 v9, v10, v9
	s_delay_alu instid0(VALU_DEP_4)
	v_sub_nc_u16 v1, v1, v12
	v_sub_nc_u16 v8, v8, v11
	s_clause 0x2
	global_store_b8 v0, v9, s[12:13]
	global_store_b8 v[4:5], v1, off
	global_store_b8 v[6:7], v8, off
	s_and_not1_b32 exec_lo, exec_lo, s11
	s_cbranch_execz .LBB2_13
.LBB2_3:                                ; =>This Loop Header: Depth=1
                                        ;     Child Loop BB2_6 Depth 2
	s_and_not1_b32 vcc_lo, exec_lo, s33
	s_cbranch_vccnz .LBB2_9
; %bb.4:                                ;   in Loop: Header=BB2_3 Depth=1
	v_dual_mov_b32 v0, 0 :: v_dual_mov_b32 v1, 0
	v_mov_b32_e32 v4, 0
	s_and_not1_b32 vcc_lo, exec_lo, s36
	s_mov_b32 s40, 0
	s_cbranch_vccnz .LBB2_10
; %bb.5:                                ;   in Loop: Header=BB2_3 Depth=1
	v_dual_mov_b32 v1, 0 :: v_dual_mov_b32 v4, 0
	v_dual_mov_b32 v0, 0 :: v_dual_mov_b32 v5, v2
	s_mov_b32 s41, s37
	s_mov_b64 s[0:1], s[34:35]
	s_set_inst_prefetch_distance 0x1
	.p2align	6
.LBB2_6:                                ;   Parent Loop BB2_3 Depth=1
                                        ; =>  This Inner Loop Header: Depth=2
	s_clause 0x2
	s_load_b128 s[44:47], s[0:1], 0x18
	s_load_b64 s[42:43], s[0:1], 0x28
	s_load_b128 s[48:51], s[0:1], 0xd8
	s_waitcnt lgkmcnt(0)
	v_mul_hi_u32 v6, s45, v5
	s_delay_alu instid0(VALU_DEP_1) | instskip(NEXT) | instid1(VALU_DEP_1)
	v_add_nc_u32_e32 v6, v5, v6
	v_lshrrev_b32_e32 v6, s46, v6
	s_delay_alu instid0(VALU_DEP_1)
	v_mul_hi_u32 v7, s42, v6
	v_mul_lo_u32 v8, v6, s44
	s_load_b64 s[44:45], s[0:1], 0xe8
	s_add_u32 s0, s0, 24
	s_addc_u32 s1, s1, 0
	s_add_i32 s41, s41, -2
	s_delay_alu instid0(SALU_CYCLE_1) | instskip(NEXT) | instid1(VALU_DEP_2)
	s_cmp_lg_u32 s41, 0
	v_add_nc_u32_e32 v7, v6, v7
	s_delay_alu instid0(VALU_DEP_2) | instskip(NEXT) | instid1(VALU_DEP_2)
	v_sub_nc_u32_e32 v8, v5, v8
	v_lshrrev_b32_e32 v5, s43, v7
	s_delay_alu instid0(VALU_DEP_2) | instskip(NEXT) | instid1(VALU_DEP_2)
	v_mul_lo_u32 v9, v8, s48
	v_mul_lo_u32 v7, v5, s47
	s_delay_alu instid0(VALU_DEP_1) | instskip(SKIP_2) | instid1(VALU_DEP_3)
	v_sub_nc_u32_e32 v6, v6, v7
	v_mul_lo_u32 v7, v8, s49
	v_mul_lo_u32 v8, v8, s50
	;; [unrolled: 1-line block ×3, first 2 shown]
	s_waitcnt lgkmcnt(0)
	v_mul_lo_u32 v11, v6, s44
	v_mul_lo_u32 v6, v6, s45
	s_delay_alu instid0(VALU_DEP_3) | instskip(NEXT) | instid1(VALU_DEP_3)
	v_add3_u32 v0, v9, v0, v10
	v_add3_u32 v4, v7, v4, v11
	s_delay_alu instid0(VALU_DEP_3)
	v_add3_u32 v1, v8, v1, v6
	s_cbranch_scc1 .LBB2_6
; %bb.7:                                ;   in Loop: Header=BB2_3 Depth=1
	s_set_inst_prefetch_distance 0x2
	s_and_not1_b32 vcc_lo, exec_lo, s38
	s_cbranch_vccnz .LBB2_10
; %bb.8:                                ;   in Loop: Header=BB2_3 Depth=1
	s_clause 0x3
	s_load_b64 s[42:43], s[0:1], 0x18
	s_load_b32 s41, s[0:1], 0x20
	s_load_b64 s[44:45], s[0:1], 0xd8
	s_load_b32 s0, s[0:1], 0xe0
	s_waitcnt lgkmcnt(0)
	v_mul_hi_u32 v6, s43, v5
	s_delay_alu instid0(VALU_DEP_1) | instskip(NEXT) | instid1(VALU_DEP_1)
	v_add_nc_u32_e32 v6, v5, v6
	v_lshrrev_b32_e32 v6, s41, v6
	s_delay_alu instid0(VALU_DEP_1) | instskip(NEXT) | instid1(VALU_DEP_1)
	v_mul_lo_u32 v6, v6, s42
	v_sub_nc_u32_e32 v9, v5, v6
	s_delay_alu instid0(VALU_DEP_1) | instskip(NEXT) | instid1(VALU_DEP_1)
	v_mad_u64_u32 v[5:6], null, v9, s44, v[0:1]
	v_mad_u64_u32 v[6:7], null, v9, s45, v[4:5]
	;; [unrolled: 1-line block ×3, first 2 shown]
	v_mov_b32_e32 v0, v5
	s_delay_alu instid0(VALU_DEP_2)
	v_dual_mov_b32 v4, v6 :: v_dual_mov_b32 v1, v7
	s_branch .LBB2_10
.LBB2_9:                                ;   in Loop: Header=BB2_3 Depth=1
	s_mov_b32 s40, -1
                                        ; implicit-def: $vgpr0
                                        ; implicit-def: $vgpr4
                                        ; implicit-def: $vgpr1
.LBB2_10:                               ;   in Loop: Header=BB2_3 Depth=1
	s_delay_alu instid0(SALU_CYCLE_1)
	s_and_not1_b32 vcc_lo, exec_lo, s40
	s_cbranch_vccnz .LBB2_2
; %bb.11:                               ;   in Loop: Header=BB2_3 Depth=1
	v_mul_hi_u32 v0, v2, s6
	s_and_not1_b32 vcc_lo, exec_lo, s4
	s_delay_alu instid0(VALU_DEP_1) | instskip(NEXT) | instid1(VALU_DEP_1)
	v_add_nc_u32_e32 v0, v0, v2
	v_lshrrev_b32_e32 v5, s7, v0
	s_delay_alu instid0(VALU_DEP_1) | instskip(NEXT) | instid1(VALU_DEP_1)
	v_mul_lo_u32 v0, v5, s5
	v_sub_nc_u32_e32 v1, v2, v0
	s_delay_alu instid0(VALU_DEP_1)
	v_mul_lo_u32 v0, v1, s20
	v_mul_lo_u32 v4, v1, s21
	;; [unrolled: 1-line block ×3, first 2 shown]
	s_cbranch_vccnz .LBB2_2
; %bb.12:                               ;   in Loop: Header=BB2_3 Depth=1
	v_mul_hi_u32 v6, s9, v5
	s_delay_alu instid0(VALU_DEP_1) | instskip(NEXT) | instid1(VALU_DEP_1)
	v_add_nc_u32_e32 v6, v5, v6
	v_lshrrev_b32_e32 v6, s10, v6
	s_delay_alu instid0(VALU_DEP_1) | instskip(NEXT) | instid1(VALU_DEP_1)
	v_mul_lo_u32 v6, v6, s8
	v_sub_nc_u32_e32 v9, v5, v6
	s_delay_alu instid0(VALU_DEP_1) | instskip(NEXT) | instid1(VALU_DEP_1)
	v_mad_u64_u32 v[5:6], null, v9, s23, v[0:1]
	v_mad_u64_u32 v[6:7], null, v9, s28, v[4:5]
	;; [unrolled: 1-line block ×3, first 2 shown]
	v_mov_b32_e32 v0, v5
	s_delay_alu instid0(VALU_DEP_2)
	v_dual_mov_b32 v4, v6 :: v_dual_mov_b32 v1, v7
	s_branch .LBB2_2
.LBB2_13:
	s_nop 0
	s_sendmsg sendmsg(MSG_DEALLOC_VGPRS)
	s_endpgm
	.section	.rodata,"a",@progbits
	.p2align	6, 0x0
	.amdhsa_kernel _ZN2at6native12cross_kernelIa16OffsetCalculatorILi3EjLb0EElEEviPT_PKS4_S7_T0_T1_S9_S9_
		.amdhsa_group_segment_fixed_size 0
		.amdhsa_private_segment_fixed_size 0
		.amdhsa_kernarg_size 704
		.amdhsa_user_sgpr_count 15
		.amdhsa_user_sgpr_dispatch_ptr 0
		.amdhsa_user_sgpr_queue_ptr 0
		.amdhsa_user_sgpr_kernarg_segment_ptr 1
		.amdhsa_user_sgpr_dispatch_id 0
		.amdhsa_user_sgpr_private_segment_size 0
		.amdhsa_wavefront_size32 1
		.amdhsa_uses_dynamic_stack 0
		.amdhsa_enable_private_segment 0
		.amdhsa_system_sgpr_workgroup_id_x 1
		.amdhsa_system_sgpr_workgroup_id_y 0
		.amdhsa_system_sgpr_workgroup_id_z 0
		.amdhsa_system_sgpr_workgroup_info 0
		.amdhsa_system_vgpr_workitem_id 0
		.amdhsa_next_free_vgpr 13
		.amdhsa_next_free_sgpr 52
		.amdhsa_reserve_vcc 1
		.amdhsa_float_round_mode_32 0
		.amdhsa_float_round_mode_16_64 0
		.amdhsa_float_denorm_mode_32 3
		.amdhsa_float_denorm_mode_16_64 3
		.amdhsa_dx10_clamp 1
		.amdhsa_ieee_mode 1
		.amdhsa_fp16_overflow 0
		.amdhsa_workgroup_processor_mode 1
		.amdhsa_memory_ordered 1
		.amdhsa_forward_progress 0
		.amdhsa_shared_vgpr_count 0
		.amdhsa_exception_fp_ieee_invalid_op 0
		.amdhsa_exception_fp_denorm_src 0
		.amdhsa_exception_fp_ieee_div_zero 0
		.amdhsa_exception_fp_ieee_overflow 0
		.amdhsa_exception_fp_ieee_underflow 0
		.amdhsa_exception_fp_ieee_inexact 0
		.amdhsa_exception_int_div_zero 0
	.end_amdhsa_kernel
	.section	.text._ZN2at6native12cross_kernelIa16OffsetCalculatorILi3EjLb0EElEEviPT_PKS4_S7_T0_T1_S9_S9_,"axG",@progbits,_ZN2at6native12cross_kernelIa16OffsetCalculatorILi3EjLb0EElEEviPT_PKS4_S7_T0_T1_S9_S9_,comdat
.Lfunc_end2:
	.size	_ZN2at6native12cross_kernelIa16OffsetCalculatorILi3EjLb0EElEEviPT_PKS4_S7_T0_T1_S9_S9_, .Lfunc_end2-_ZN2at6native12cross_kernelIa16OffsetCalculatorILi3EjLb0EElEEviPT_PKS4_S7_T0_T1_S9_S9_
                                        ; -- End function
	.section	.AMDGPU.csdata,"",@progbits
; Kernel info:
; codeLenInByte = 1192
; NumSgprs: 54
; NumVgprs: 13
; ScratchSize: 0
; MemoryBound: 0
; FloatMode: 240
; IeeeMode: 1
; LDSByteSize: 0 bytes/workgroup (compile time only)
; SGPRBlocks: 6
; VGPRBlocks: 1
; NumSGPRsForWavesPerEU: 54
; NumVGPRsForWavesPerEU: 13
; Occupancy: 16
; WaveLimiterHint : 1
; COMPUTE_PGM_RSRC2:SCRATCH_EN: 0
; COMPUTE_PGM_RSRC2:USER_SGPR: 15
; COMPUTE_PGM_RSRC2:TRAP_HANDLER: 0
; COMPUTE_PGM_RSRC2:TGID_X_EN: 1
; COMPUTE_PGM_RSRC2:TGID_Y_EN: 0
; COMPUTE_PGM_RSRC2:TGID_Z_EN: 0
; COMPUTE_PGM_RSRC2:TIDIG_COMP_CNT: 0
	.section	.text._ZN2at6native12cross_kernelIa16OffsetCalculatorILi3EjLb0EEiEEviPT_PKS4_S7_T0_T1_S9_S9_,"axG",@progbits,_ZN2at6native12cross_kernelIa16OffsetCalculatorILi3EjLb0EEiEEviPT_PKS4_S7_T0_T1_S9_S9_,comdat
	.protected	_ZN2at6native12cross_kernelIa16OffsetCalculatorILi3EjLb0EEiEEviPT_PKS4_S7_T0_T1_S9_S9_ ; -- Begin function _ZN2at6native12cross_kernelIa16OffsetCalculatorILi3EjLb0EEiEEviPT_PKS4_S7_T0_T1_S9_S9_
	.globl	_ZN2at6native12cross_kernelIa16OffsetCalculatorILi3EjLb0EEiEEviPT_PKS4_S7_T0_T1_S9_S9_
	.p2align	8
	.type	_ZN2at6native12cross_kernelIa16OffsetCalculatorILi3EjLb0EEiEEviPT_PKS4_S7_T0_T1_S9_S9_,@function
_ZN2at6native12cross_kernelIa16OffsetCalculatorILi3EjLb0EEiEEviPT_PKS4_S7_T0_T1_S9_S9_: ; @_ZN2at6native12cross_kernelIa16OffsetCalculatorILi3EjLb0EEiEEviPT_PKS4_S7_T0_T1_S9_S9_
; %bb.0:
	s_clause 0x1
	s_load_b32 s2, s[0:1], 0x0
	s_load_b32 s4, s[0:1], 0x1bc
	v_mov_b32_e32 v1, 0
	s_waitcnt lgkmcnt(0)
	s_ashr_i32 s3, s2, 31
	s_add_u32 s20, s0, 0x1b0
	s_addc_u32 s21, s1, 0
	s_and_b32 s28, s4, 0xffff
	s_mov_b32 s4, exec_lo
	v_mad_u64_u32 v[2:3], null, s28, s15, v[0:1]
	s_delay_alu instid0(VALU_DEP_1)
	v_cmpx_gt_i64_e64 s[2:3], v[2:3]
	s_cbranch_execz .LBB3_13
; %bb.1:
	s_clause 0x3
	s_load_b256 s[4:11], s[0:1], 0x20
	s_load_b128 s[12:15], s[0:1], 0x1a4
	s_load_b128 s[16:19], s[0:1], 0x8
	s_load_b64 s[24:25], s[0:1], 0x18
	s_load_b32 s29, s[20:21], 0x0
	s_clause 0x1
	s_load_b128 s[20:23], s[0:1], 0xe4
	s_load_b64 s[26:27], s[0:1], 0xf4
	s_waitcnt lgkmcnt(0)
	s_mov_b32 s11, 0
	s_add_i32 s34, s4, -1
	s_mov_b32 s15, s13
	s_cmp_gt_u32 s34, 1
	s_mov_b32 s31, s12
	s_cselect_b32 s30, -1, 0
	s_cmp_lg_u32 s4, 0
	s_mul_i32 s41, s29, s28
	s_cselect_b32 s33, -1, 0
	s_min_u32 s40, s34, 15
	s_cmp_gt_u32 s4, 1
	s_cselect_b32 s4, -1, 0
	s_lshl_b32 s35, s14, 1
	s_add_i32 s39, s40, 1
	s_ashr_i32 s34, s13, 31
	s_ashr_i32 s36, s14, 31
	;; [unrolled: 1-line block ×4, first 2 shown]
	s_and_b32 s39, s39, 30
	s_bitcmp0_b32 s40, 0
	s_cselect_b32 s40, -1, 0
	s_add_u32 s28, s0, 12
	s_addc_u32 s29, s1, 0
	s_branch .LBB3_3
.LBB3_2:                                ;   in Loop: Header=BB3_3 Depth=1
	s_delay_alu instid0(VALU_DEP_1) | instskip(NEXT) | instid1(VALU_DEP_1)
	v_add_co_u32 v5, s0, s18, v4
	v_add_co_ci_u32_e64 v6, null, s19, 0, s0
	s_delay_alu instid0(VALU_DEP_3) | instskip(NEXT) | instid1(VALU_DEP_3)
	v_add_co_u32 v9, s0, s24, v1
	v_add_co_u32 v5, vcc_lo, v5, s15
	v_add_co_ci_u32_e64 v10, null, s25, 0, s0
	s_delay_alu instid0(VALU_DEP_4) | instskip(NEXT) | instid1(VALU_DEP_4)
	v_add_co_ci_u32_e32 v6, vcc_lo, s34, v6, vcc_lo
	v_add_co_u32 v7, vcc_lo, v9, s35
	s_delay_alu instid0(VALU_DEP_3)
	v_add_co_ci_u32_e32 v8, vcc_lo, s38, v10, vcc_lo
	v_add_co_u32 v9, vcc_lo, v9, s14
	v_add_co_ci_u32_e32 v10, vcc_lo, s36, v10, vcc_lo
	global_load_u8 v11, v[5:6], off
	v_add_co_u32 v5, vcc_lo, v5, s13
	v_add_co_ci_u32_e32 v6, vcc_lo, s34, v6, vcc_lo
	global_load_u8 v7, v[7:8], off
	global_load_u8 v8, v4, s[18:19]
	s_clause 0x1
	global_load_u8 v9, v[9:10], off
	global_load_u8 v1, v1, s[24:25]
	global_load_u8 v6, v[5:6], off
	v_add_co_u32 v4, s0, s16, v0
	v_add_co_u32 v2, vcc_lo, v2, s41
	v_add_co_ci_u32_e64 v5, null, s17, 0, s0
	v_add_co_ci_u32_e32 v3, vcc_lo, 0, v3, vcc_lo
	s_delay_alu instid0(VALU_DEP_4) | instskip(NEXT) | instid1(VALU_DEP_3)
	v_add_co_u32 v4, vcc_lo, v4, s31
	v_add_co_ci_u32_e32 v5, vcc_lo, s37, v5, vcc_lo
	s_delay_alu instid0(VALU_DEP_3)
	v_cmp_le_i64_e32 vcc_lo, s[2:3], v[2:3]
	s_or_b32 s11, vcc_lo, s11
	s_waitcnt vmcnt(4)
	v_mul_lo_u16 v10, v7, v11
	s_waitcnt vmcnt(3)
	v_mul_lo_u16 v12, v8, v7
	;; [unrolled: 2-line block ×5, first 2 shown]
	v_mul_lo_u16 v1, v1, v6
	v_add_co_u32 v6, s0, v4, s12
	s_delay_alu instid0(VALU_DEP_1) | instskip(NEXT) | instid1(VALU_DEP_4)
	v_add_co_ci_u32_e64 v7, s0, s37, v5, s0
	v_sub_nc_u16 v9, v10, v9
	s_delay_alu instid0(VALU_DEP_4)
	v_sub_nc_u16 v1, v1, v12
	v_sub_nc_u16 v8, v8, v11
	s_clause 0x2
	global_store_b8 v0, v9, s[16:17]
	global_store_b8 v[4:5], v1, off
	global_store_b8 v[6:7], v8, off
	s_and_not1_b32 exec_lo, exec_lo, s11
	s_cbranch_execz .LBB3_13
.LBB3_3:                                ; =>This Loop Header: Depth=1
                                        ;     Child Loop BB3_6 Depth 2
	s_and_not1_b32 vcc_lo, exec_lo, s30
	s_cbranch_vccnz .LBB3_9
; %bb.4:                                ;   in Loop: Header=BB3_3 Depth=1
	v_dual_mov_b32 v0, 0 :: v_dual_mov_b32 v1, 0
	v_mov_b32_e32 v4, 0
	s_and_not1_b32 vcc_lo, exec_lo, s33
	s_mov_b32 s42, 0
	s_cbranch_vccnz .LBB3_10
; %bb.5:                                ;   in Loop: Header=BB3_3 Depth=1
	v_dual_mov_b32 v1, 0 :: v_dual_mov_b32 v4, 0
	v_dual_mov_b32 v0, 0 :: v_dual_mov_b32 v5, v2
	s_mov_b32 s43, s39
	s_mov_b64 s[0:1], s[28:29]
	s_set_inst_prefetch_distance 0x1
	.p2align	6
.LBB3_6:                                ;   Parent Loop BB3_3 Depth=1
                                        ; =>  This Inner Loop Header: Depth=2
	s_clause 0x2
	s_load_b128 s[44:47], s[0:1], 0x18
	s_load_b64 s[52:53], s[0:1], 0x28
	s_load_b128 s[48:51], s[0:1], 0xd8
	s_waitcnt lgkmcnt(0)
	v_mul_hi_u32 v6, s45, v5
	s_delay_alu instid0(VALU_DEP_1) | instskip(NEXT) | instid1(VALU_DEP_1)
	v_add_nc_u32_e32 v6, v5, v6
	v_lshrrev_b32_e32 v6, s46, v6
	s_delay_alu instid0(VALU_DEP_1)
	v_mul_hi_u32 v7, s52, v6
	v_mul_lo_u32 v8, v6, s44
	s_load_b64 s[44:45], s[0:1], 0xe8
	s_add_u32 s0, s0, 24
	s_addc_u32 s1, s1, 0
	s_add_i32 s43, s43, -2
	s_delay_alu instid0(SALU_CYCLE_1) | instskip(NEXT) | instid1(VALU_DEP_2)
	s_cmp_lg_u32 s43, 0
	v_add_nc_u32_e32 v7, v6, v7
	s_delay_alu instid0(VALU_DEP_2) | instskip(NEXT) | instid1(VALU_DEP_2)
	v_sub_nc_u32_e32 v8, v5, v8
	v_lshrrev_b32_e32 v5, s53, v7
	s_delay_alu instid0(VALU_DEP_2) | instskip(NEXT) | instid1(VALU_DEP_2)
	v_mul_lo_u32 v9, v8, s48
	v_mul_lo_u32 v7, v5, s47
	s_delay_alu instid0(VALU_DEP_1) | instskip(SKIP_2) | instid1(VALU_DEP_3)
	v_sub_nc_u32_e32 v6, v6, v7
	v_mul_lo_u32 v7, v8, s49
	v_mul_lo_u32 v8, v8, s50
	;; [unrolled: 1-line block ×3, first 2 shown]
	s_waitcnt lgkmcnt(0)
	v_mul_lo_u32 v11, v6, s44
	v_mul_lo_u32 v6, v6, s45
	s_delay_alu instid0(VALU_DEP_3) | instskip(NEXT) | instid1(VALU_DEP_3)
	v_add3_u32 v0, v9, v0, v10
	v_add3_u32 v4, v7, v4, v11
	s_delay_alu instid0(VALU_DEP_3)
	v_add3_u32 v1, v8, v1, v6
	s_cbranch_scc1 .LBB3_6
; %bb.7:                                ;   in Loop: Header=BB3_3 Depth=1
	s_set_inst_prefetch_distance 0x2
	s_and_not1_b32 vcc_lo, exec_lo, s40
	s_cbranch_vccnz .LBB3_10
; %bb.8:                                ;   in Loop: Header=BB3_3 Depth=1
	s_clause 0x3
	s_load_b64 s[44:45], s[0:1], 0x18
	s_load_b32 s43, s[0:1], 0x20
	s_load_b64 s[46:47], s[0:1], 0xd8
	s_load_b32 s0, s[0:1], 0xe0
	s_waitcnt lgkmcnt(0)
	v_mul_hi_u32 v6, s45, v5
	s_delay_alu instid0(VALU_DEP_1) | instskip(NEXT) | instid1(VALU_DEP_1)
	v_add_nc_u32_e32 v6, v5, v6
	v_lshrrev_b32_e32 v6, s43, v6
	s_delay_alu instid0(VALU_DEP_1) | instskip(NEXT) | instid1(VALU_DEP_1)
	v_mul_lo_u32 v6, v6, s44
	v_sub_nc_u32_e32 v9, v5, v6
	s_delay_alu instid0(VALU_DEP_1) | instskip(NEXT) | instid1(VALU_DEP_1)
	v_mad_u64_u32 v[5:6], null, v9, s46, v[0:1]
	v_mad_u64_u32 v[6:7], null, v9, s47, v[4:5]
	;; [unrolled: 1-line block ×3, first 2 shown]
	v_mov_b32_e32 v0, v5
	s_delay_alu instid0(VALU_DEP_2)
	v_dual_mov_b32 v4, v6 :: v_dual_mov_b32 v1, v7
	s_branch .LBB3_10
.LBB3_9:                                ;   in Loop: Header=BB3_3 Depth=1
	s_mov_b32 s42, -1
                                        ; implicit-def: $vgpr0
                                        ; implicit-def: $vgpr4
                                        ; implicit-def: $vgpr1
.LBB3_10:                               ;   in Loop: Header=BB3_3 Depth=1
	s_delay_alu instid0(SALU_CYCLE_1)
	s_and_not1_b32 vcc_lo, exec_lo, s42
	s_cbranch_vccnz .LBB3_2
; %bb.11:                               ;   in Loop: Header=BB3_3 Depth=1
	v_mul_hi_u32 v0, v2, s6
	s_and_not1_b32 vcc_lo, exec_lo, s4
	s_delay_alu instid0(VALU_DEP_1) | instskip(NEXT) | instid1(VALU_DEP_1)
	v_add_nc_u32_e32 v0, v0, v2
	v_lshrrev_b32_e32 v5, s7, v0
	s_delay_alu instid0(VALU_DEP_1) | instskip(NEXT) | instid1(VALU_DEP_1)
	v_mul_lo_u32 v0, v5, s5
	v_sub_nc_u32_e32 v1, v2, v0
	s_delay_alu instid0(VALU_DEP_1)
	v_mul_lo_u32 v0, v1, s20
	v_mul_lo_u32 v4, v1, s21
	;; [unrolled: 1-line block ×3, first 2 shown]
	s_cbranch_vccnz .LBB3_2
; %bb.12:                               ;   in Loop: Header=BB3_3 Depth=1
	v_mul_hi_u32 v6, s9, v5
	s_delay_alu instid0(VALU_DEP_1) | instskip(NEXT) | instid1(VALU_DEP_1)
	v_add_nc_u32_e32 v6, v5, v6
	v_lshrrev_b32_e32 v6, s10, v6
	s_delay_alu instid0(VALU_DEP_1) | instskip(NEXT) | instid1(VALU_DEP_1)
	v_mul_lo_u32 v6, v6, s8
	v_sub_nc_u32_e32 v9, v5, v6
	s_delay_alu instid0(VALU_DEP_1) | instskip(NEXT) | instid1(VALU_DEP_1)
	v_mad_u64_u32 v[5:6], null, v9, s23, v[0:1]
	v_mad_u64_u32 v[6:7], null, v9, s26, v[4:5]
	;; [unrolled: 1-line block ×3, first 2 shown]
	v_mov_b32_e32 v0, v5
	s_delay_alu instid0(VALU_DEP_2)
	v_dual_mov_b32 v4, v6 :: v_dual_mov_b32 v1, v7
	s_branch .LBB3_2
.LBB3_13:
	s_nop 0
	s_sendmsg sendmsg(MSG_DEALLOC_VGPRS)
	s_endpgm
	.section	.rodata,"a",@progbits
	.p2align	6, 0x0
	.amdhsa_kernel _ZN2at6native12cross_kernelIa16OffsetCalculatorILi3EjLb0EEiEEviPT_PKS4_S7_T0_T1_S9_S9_
		.amdhsa_group_segment_fixed_size 0
		.amdhsa_private_segment_fixed_size 0
		.amdhsa_kernarg_size 688
		.amdhsa_user_sgpr_count 15
		.amdhsa_user_sgpr_dispatch_ptr 0
		.amdhsa_user_sgpr_queue_ptr 0
		.amdhsa_user_sgpr_kernarg_segment_ptr 1
		.amdhsa_user_sgpr_dispatch_id 0
		.amdhsa_user_sgpr_private_segment_size 0
		.amdhsa_wavefront_size32 1
		.amdhsa_uses_dynamic_stack 0
		.amdhsa_enable_private_segment 0
		.amdhsa_system_sgpr_workgroup_id_x 1
		.amdhsa_system_sgpr_workgroup_id_y 0
		.amdhsa_system_sgpr_workgroup_id_z 0
		.amdhsa_system_sgpr_workgroup_info 0
		.amdhsa_system_vgpr_workitem_id 0
		.amdhsa_next_free_vgpr 13
		.amdhsa_next_free_sgpr 54
		.amdhsa_reserve_vcc 1
		.amdhsa_float_round_mode_32 0
		.amdhsa_float_round_mode_16_64 0
		.amdhsa_float_denorm_mode_32 3
		.amdhsa_float_denorm_mode_16_64 3
		.amdhsa_dx10_clamp 1
		.amdhsa_ieee_mode 1
		.amdhsa_fp16_overflow 0
		.amdhsa_workgroup_processor_mode 1
		.amdhsa_memory_ordered 1
		.amdhsa_forward_progress 0
		.amdhsa_shared_vgpr_count 0
		.amdhsa_exception_fp_ieee_invalid_op 0
		.amdhsa_exception_fp_denorm_src 0
		.amdhsa_exception_fp_ieee_div_zero 0
		.amdhsa_exception_fp_ieee_overflow 0
		.amdhsa_exception_fp_ieee_underflow 0
		.amdhsa_exception_fp_ieee_inexact 0
		.amdhsa_exception_int_div_zero 0
	.end_amdhsa_kernel
	.section	.text._ZN2at6native12cross_kernelIa16OffsetCalculatorILi3EjLb0EEiEEviPT_PKS4_S7_T0_T1_S9_S9_,"axG",@progbits,_ZN2at6native12cross_kernelIa16OffsetCalculatorILi3EjLb0EEiEEviPT_PKS4_S7_T0_T1_S9_S9_,comdat
.Lfunc_end3:
	.size	_ZN2at6native12cross_kernelIa16OffsetCalculatorILi3EjLb0EEiEEviPT_PKS4_S7_T0_T1_S9_S9_, .Lfunc_end3-_ZN2at6native12cross_kernelIa16OffsetCalculatorILi3EjLb0EEiEEviPT_PKS4_S7_T0_T1_S9_S9_
                                        ; -- End function
	.section	.AMDGPU.csdata,"",@progbits
; Kernel info:
; codeLenInByte = 1204
; NumSgprs: 56
; NumVgprs: 13
; ScratchSize: 0
; MemoryBound: 0
; FloatMode: 240
; IeeeMode: 1
; LDSByteSize: 0 bytes/workgroup (compile time only)
; SGPRBlocks: 6
; VGPRBlocks: 1
; NumSGPRsForWavesPerEU: 56
; NumVGPRsForWavesPerEU: 13
; Occupancy: 16
; WaveLimiterHint : 1
; COMPUTE_PGM_RSRC2:SCRATCH_EN: 0
; COMPUTE_PGM_RSRC2:USER_SGPR: 15
; COMPUTE_PGM_RSRC2:TRAP_HANDLER: 0
; COMPUTE_PGM_RSRC2:TGID_X_EN: 1
; COMPUTE_PGM_RSRC2:TGID_Y_EN: 0
; COMPUTE_PGM_RSRC2:TGID_Z_EN: 0
; COMPUTE_PGM_RSRC2:TIDIG_COMP_CNT: 0
	.section	.text._ZN2at6native12cross_kernelIi16OffsetCalculatorILi3EjLb0EElEEviPT_PKS4_S7_T0_T1_S9_S9_,"axG",@progbits,_ZN2at6native12cross_kernelIi16OffsetCalculatorILi3EjLb0EElEEviPT_PKS4_S7_T0_T1_S9_S9_,comdat
	.protected	_ZN2at6native12cross_kernelIi16OffsetCalculatorILi3EjLb0EElEEviPT_PKS4_S7_T0_T1_S9_S9_ ; -- Begin function _ZN2at6native12cross_kernelIi16OffsetCalculatorILi3EjLb0EElEEviPT_PKS4_S7_T0_T1_S9_S9_
	.globl	_ZN2at6native12cross_kernelIi16OffsetCalculatorILi3EjLb0EElEEviPT_PKS4_S7_T0_T1_S9_S9_
	.p2align	8
	.type	_ZN2at6native12cross_kernelIi16OffsetCalculatorILi3EjLb0EElEEviPT_PKS4_S7_T0_T1_S9_S9_,@function
_ZN2at6native12cross_kernelIi16OffsetCalculatorILi3EjLb0EElEEviPT_PKS4_S7_T0_T1_S9_S9_: ; @_ZN2at6native12cross_kernelIi16OffsetCalculatorILi3EjLb0EElEEviPT_PKS4_S7_T0_T1_S9_S9_
; %bb.0:
	s_clause 0x1
	s_load_b32 s2, s[0:1], 0x0
	s_load_b32 s4, s[0:1], 0x1cc
	v_mov_b32_e32 v1, 0
	s_waitcnt lgkmcnt(0)
	s_ashr_i32 s3, s2, 31
	s_add_u32 s12, s0, 0x1c0
	s_addc_u32 s13, s1, 0
	s_and_b32 s28, s4, 0xffff
	s_mov_b32 s4, exec_lo
	v_mad_u64_u32 v[2:3], null, s28, s15, v[0:1]
	s_delay_alu instid0(VALU_DEP_1)
	v_cmpx_gt_i64_e64 s[2:3], v[2:3]
	s_cbranch_execz .LBB4_13
; %bb.1:
	s_load_b256 s[4:11], s[0:1], 0x20
	s_load_b32 s29, s[12:13], 0x0
	s_clause 0x5
	s_load_b64 s[30:31], s[0:1], 0x1b8
	s_load_b128 s[12:15], s[0:1], 0x8
	s_load_b64 s[24:25], s[0:1], 0x18
	s_load_b128 s[20:23], s[0:1], 0x1a8
	s_load_b128 s[16:19], s[0:1], 0xe4
	s_load_b64 s[26:27], s[0:1], 0xf4
	s_waitcnt lgkmcnt(0)
	s_mov_b32 s11, 0
	s_add_i32 s36, s4, -1
	s_mul_i32 s33, s29, s28
	s_cmp_gt_u32 s36, 1
	s_cselect_b32 s34, -1, 0
	s_cmp_lg_u32 s4, 0
	s_cselect_b32 s35, -1, 0
	s_min_u32 s37, s36, 15
	s_cmp_gt_u32 s4, 1
	s_cselect_b32 s4, -1, 0
	s_add_i32 s36, s37, 1
	s_lshl_b64 s[28:29], s[30:31], 3
	s_and_b32 s36, s36, 30
	s_bitcmp0_b32 s37, 0
	s_cselect_b32 s37, -1, 0
	s_lshl_b64 s[30:31], s[30:31], 2
	s_lshl_b64 s[22:23], s[22:23], 2
	s_sub_u32 s38, 0, s30
	s_subb_u32 s39, 0, s31
	s_lshl_b64 s[20:21], s[20:21], 2
	s_add_u32 s30, s0, 12
	s_addc_u32 s31, s1, 0
	s_branch .LBB4_3
.LBB4_2:                                ;   in Loop: Header=BB4_3 Depth=1
	v_mov_b32_e32 v7, v1
	v_mov_b32_e32 v5, v1
	s_delay_alu instid0(VALU_DEP_2) | instskip(NEXT) | instid1(VALU_DEP_2)
	v_lshlrev_b64 v[6:7], 2, v[6:7]
	v_lshlrev_b64 v[4:5], 2, v[4:5]
	s_delay_alu instid0(VALU_DEP_2) | instskip(NEXT) | instid1(VALU_DEP_3)
	v_add_co_u32 v6, vcc_lo, s14, v6
	v_add_co_ci_u32_e32 v7, vcc_lo, s15, v7, vcc_lo
	s_delay_alu instid0(VALU_DEP_3) | instskip(NEXT) | instid1(VALU_DEP_4)
	v_add_co_u32 v4, vcc_lo, s24, v4
	v_add_co_ci_u32_e32 v5, vcc_lo, s25, v5, vcc_lo
	s_delay_alu instid0(VALU_DEP_4) | instskip(NEXT) | instid1(VALU_DEP_4)
	v_add_co_u32 v8, vcc_lo, v6, s22
	v_add_co_ci_u32_e32 v9, vcc_lo, s23, v7, vcc_lo
	s_delay_alu instid0(VALU_DEP_4) | instskip(NEXT) | instid1(VALU_DEP_4)
	v_add_co_u32 v10, vcc_lo, v4, s28
	v_add_co_ci_u32_e32 v11, vcc_lo, s29, v5, vcc_lo
	global_load_b32 v14, v[8:9], off
	v_add_co_u32 v8, vcc_lo, v8, s22
	v_add_co_ci_u32_e32 v9, vcc_lo, s23, v9, vcc_lo
	v_add_co_u32 v12, vcc_lo, v10, s38
	v_add_co_ci_u32_e32 v13, vcc_lo, s39, v11, vcc_lo
	global_load_b32 v10, v[10:11], off
	s_clause 0x1
	global_load_b32 v8, v[8:9], off
	global_load_b32 v9, v[6:7], off
	s_clause 0x1
	global_load_b32 v11, v[4:5], off
	global_load_b32 v12, v[12:13], off
	v_lshlrev_b64 v[4:5], 2, v[0:1]
	s_delay_alu instid0(VALU_DEP_1) | instskip(NEXT) | instid1(VALU_DEP_2)
	v_add_co_u32 v4, vcc_lo, s12, v4
	v_add_co_ci_u32_e32 v5, vcc_lo, s13, v5, vcc_lo
	v_add_co_u32 v2, vcc_lo, v2, s33
	v_add_co_ci_u32_e32 v3, vcc_lo, 0, v3, vcc_lo
	s_delay_alu instid0(VALU_DEP_4) | instskip(NEXT) | instid1(VALU_DEP_4)
	v_add_co_u32 v6, vcc_lo, v4, s20
	v_add_co_ci_u32_e32 v7, vcc_lo, s21, v5, vcc_lo
	s_delay_alu instid0(VALU_DEP_3)
	v_cmp_le_i64_e32 vcc_lo, s[2:3], v[2:3]
	s_or_b32 s11, vcc_lo, s11
	s_waitcnt vmcnt(4)
	v_mul_lo_u32 v0, v10, v14
	s_waitcnt vmcnt(2)
	v_mul_lo_u32 v10, v9, v10
	;; [unrolled: 2-line block ×4, first 2 shown]
	v_mul_lo_u32 v11, v11, v8
	v_mul_lo_u32 v12, v9, v12
	v_add_co_u32 v8, s0, v6, s20
	s_delay_alu instid0(VALU_DEP_1)
	v_add_co_ci_u32_e64 v9, s0, s21, v7, s0
	v_sub_nc_u32_e32 v0, v0, v14
	v_sub_nc_u32_e32 v10, v11, v10
	v_sub_nc_u32_e32 v11, v12, v13
	s_clause 0x2
	global_store_b32 v[4:5], v0, off
	global_store_b32 v[6:7], v10, off
	;; [unrolled: 1-line block ×3, first 2 shown]
	s_and_not1_b32 exec_lo, exec_lo, s11
	s_cbranch_execz .LBB4_13
.LBB4_3:                                ; =>This Loop Header: Depth=1
                                        ;     Child Loop BB4_6 Depth 2
	s_and_not1_b32 vcc_lo, exec_lo, s34
	s_cbranch_vccnz .LBB4_9
; %bb.4:                                ;   in Loop: Header=BB4_3 Depth=1
	v_mov_b32_e32 v0, 0
	v_mov_b32_e32 v6, 0
	;; [unrolled: 1-line block ×3, first 2 shown]
	s_and_not1_b32 vcc_lo, exec_lo, s35
	s_mov_b32 s40, 0
	s_cbranch_vccnz .LBB4_10
; %bb.5:                                ;   in Loop: Header=BB4_3 Depth=1
	v_dual_mov_b32 v4, 0 :: v_dual_mov_b32 v5, v2
	v_mov_b32_e32 v6, 0
	s_mov_b32 s41, s36
	s_mov_b64 s[0:1], s[30:31]
	s_delay_alu instid0(VALU_DEP_2)
	v_mov_b32_e32 v0, v4
	s_set_inst_prefetch_distance 0x1
	.p2align	6
.LBB4_6:                                ;   Parent Loop BB4_3 Depth=1
                                        ; =>  This Inner Loop Header: Depth=2
	s_clause 0x2
	s_load_b128 s[44:47], s[0:1], 0x18
	s_load_b64 s[42:43], s[0:1], 0x28
	s_load_b128 s[48:51], s[0:1], 0xd8
	s_waitcnt lgkmcnt(0)
	v_mul_hi_u32 v7, s45, v5
	s_delay_alu instid0(VALU_DEP_1) | instskip(NEXT) | instid1(VALU_DEP_1)
	v_add_nc_u32_e32 v7, v5, v7
	v_lshrrev_b32_e32 v7, s46, v7
	s_delay_alu instid0(VALU_DEP_1)
	v_mul_hi_u32 v8, s42, v7
	v_mul_lo_u32 v9, v7, s44
	s_load_b64 s[44:45], s[0:1], 0xe8
	s_add_u32 s0, s0, 24
	s_addc_u32 s1, s1, 0
	s_add_i32 s41, s41, -2
	s_delay_alu instid0(SALU_CYCLE_1) | instskip(NEXT) | instid1(VALU_DEP_2)
	s_cmp_lg_u32 s41, 0
	v_add_nc_u32_e32 v8, v7, v8
	s_delay_alu instid0(VALU_DEP_2) | instskip(NEXT) | instid1(VALU_DEP_2)
	v_sub_nc_u32_e32 v9, v5, v9
	v_lshrrev_b32_e32 v5, s43, v8
	s_delay_alu instid0(VALU_DEP_2) | instskip(NEXT) | instid1(VALU_DEP_2)
	v_mul_lo_u32 v10, v9, s48
	v_mul_lo_u32 v8, v5, s47
	s_delay_alu instid0(VALU_DEP_1) | instskip(SKIP_2) | instid1(VALU_DEP_3)
	v_sub_nc_u32_e32 v7, v7, v8
	v_mul_lo_u32 v8, v9, s49
	v_mul_lo_u32 v9, v9, s50
	v_mul_lo_u32 v11, v7, s51
	s_waitcnt lgkmcnt(0)
	v_mul_lo_u32 v12, v7, s44
	v_mul_lo_u32 v7, v7, s45
	s_delay_alu instid0(VALU_DEP_3) | instskip(NEXT) | instid1(VALU_DEP_3)
	v_add3_u32 v0, v10, v0, v11
	v_add3_u32 v6, v8, v6, v12
	s_delay_alu instid0(VALU_DEP_3)
	v_add3_u32 v4, v9, v4, v7
	s_cbranch_scc1 .LBB4_6
; %bb.7:                                ;   in Loop: Header=BB4_3 Depth=1
	s_set_inst_prefetch_distance 0x2
	s_and_not1_b32 vcc_lo, exec_lo, s37
	s_cbranch_vccnz .LBB4_10
; %bb.8:                                ;   in Loop: Header=BB4_3 Depth=1
	s_clause 0x3
	s_load_b64 s[42:43], s[0:1], 0x18
	s_load_b32 s41, s[0:1], 0x20
	s_load_b64 s[44:45], s[0:1], 0xd8
	s_load_b32 s0, s[0:1], 0xe0
	s_waitcnt lgkmcnt(0)
	v_mul_hi_u32 v7, s43, v5
	s_delay_alu instid0(VALU_DEP_1) | instskip(NEXT) | instid1(VALU_DEP_1)
	v_add_nc_u32_e32 v7, v5, v7
	v_lshrrev_b32_e32 v7, s41, v7
	s_delay_alu instid0(VALU_DEP_1) | instskip(NEXT) | instid1(VALU_DEP_1)
	v_mul_lo_u32 v7, v7, s42
	v_sub_nc_u32_e32 v10, v5, v7
	s_delay_alu instid0(VALU_DEP_1) | instskip(NEXT) | instid1(VALU_DEP_1)
	v_mad_u64_u32 v[7:8], null, v10, s44, v[0:1]
	v_mad_u64_u32 v[8:9], null, v10, s45, v[6:7]
	;; [unrolled: 1-line block ×3, first 2 shown]
	v_mov_b32_e32 v0, v7
	s_delay_alu instid0(VALU_DEP_3) | instskip(NEXT) | instid1(VALU_DEP_3)
	v_mov_b32_e32 v6, v8
	v_mov_b32_e32 v4, v5
	s_branch .LBB4_10
.LBB4_9:                                ;   in Loop: Header=BB4_3 Depth=1
	s_mov_b32 s40, -1
                                        ; implicit-def: $vgpr6
                                        ; implicit-def: $vgpr4
.LBB4_10:                               ;   in Loop: Header=BB4_3 Depth=1
	s_delay_alu instid0(SALU_CYCLE_1)
	s_and_not1_b32 vcc_lo, exec_lo, s40
	s_cbranch_vccnz .LBB4_2
; %bb.11:                               ;   in Loop: Header=BB4_3 Depth=1
	v_mul_hi_u32 v0, v2, s6
	s_and_not1_b32 vcc_lo, exec_lo, s4
	s_delay_alu instid0(VALU_DEP_1) | instskip(NEXT) | instid1(VALU_DEP_1)
	v_add_nc_u32_e32 v0, v0, v2
	v_lshrrev_b32_e32 v5, s7, v0
	s_delay_alu instid0(VALU_DEP_1) | instskip(NEXT) | instid1(VALU_DEP_1)
	v_mul_lo_u32 v0, v5, s5
	v_sub_nc_u32_e32 v4, v2, v0
	s_delay_alu instid0(VALU_DEP_1)
	v_mul_lo_u32 v0, v4, s16
	v_mul_lo_u32 v6, v4, s17
	;; [unrolled: 1-line block ×3, first 2 shown]
	s_cbranch_vccnz .LBB4_2
; %bb.12:                               ;   in Loop: Header=BB4_3 Depth=1
	v_mul_hi_u32 v7, s9, v5
	s_delay_alu instid0(VALU_DEP_1) | instskip(NEXT) | instid1(VALU_DEP_1)
	v_add_nc_u32_e32 v7, v5, v7
	v_lshrrev_b32_e32 v7, s10, v7
	s_delay_alu instid0(VALU_DEP_1) | instskip(NEXT) | instid1(VALU_DEP_1)
	v_mul_lo_u32 v7, v7, s8
	v_sub_nc_u32_e32 v10, v5, v7
	s_delay_alu instid0(VALU_DEP_1) | instskip(NEXT) | instid1(VALU_DEP_1)
	v_mad_u64_u32 v[7:8], null, v10, s19, v[0:1]
	v_mad_u64_u32 v[8:9], null, v10, s26, v[6:7]
	;; [unrolled: 1-line block ×3, first 2 shown]
	v_mov_b32_e32 v0, v7
	s_delay_alu instid0(VALU_DEP_3) | instskip(NEXT) | instid1(VALU_DEP_3)
	v_mov_b32_e32 v6, v8
	v_mov_b32_e32 v4, v5
	s_branch .LBB4_2
.LBB4_13:
	s_nop 0
	s_sendmsg sendmsg(MSG_DEALLOC_VGPRS)
	s_endpgm
	.section	.rodata,"a",@progbits
	.p2align	6, 0x0
	.amdhsa_kernel _ZN2at6native12cross_kernelIi16OffsetCalculatorILi3EjLb0EElEEviPT_PKS4_S7_T0_T1_S9_S9_
		.amdhsa_group_segment_fixed_size 0
		.amdhsa_private_segment_fixed_size 0
		.amdhsa_kernarg_size 704
		.amdhsa_user_sgpr_count 15
		.amdhsa_user_sgpr_dispatch_ptr 0
		.amdhsa_user_sgpr_queue_ptr 0
		.amdhsa_user_sgpr_kernarg_segment_ptr 1
		.amdhsa_user_sgpr_dispatch_id 0
		.amdhsa_user_sgpr_private_segment_size 0
		.amdhsa_wavefront_size32 1
		.amdhsa_uses_dynamic_stack 0
		.amdhsa_enable_private_segment 0
		.amdhsa_system_sgpr_workgroup_id_x 1
		.amdhsa_system_sgpr_workgroup_id_y 0
		.amdhsa_system_sgpr_workgroup_id_z 0
		.amdhsa_system_sgpr_workgroup_info 0
		.amdhsa_system_vgpr_workitem_id 0
		.amdhsa_next_free_vgpr 15
		.amdhsa_next_free_sgpr 52
		.amdhsa_reserve_vcc 1
		.amdhsa_float_round_mode_32 0
		.amdhsa_float_round_mode_16_64 0
		.amdhsa_float_denorm_mode_32 3
		.amdhsa_float_denorm_mode_16_64 3
		.amdhsa_dx10_clamp 1
		.amdhsa_ieee_mode 1
		.amdhsa_fp16_overflow 0
		.amdhsa_workgroup_processor_mode 1
		.amdhsa_memory_ordered 1
		.amdhsa_forward_progress 0
		.amdhsa_shared_vgpr_count 0
		.amdhsa_exception_fp_ieee_invalid_op 0
		.amdhsa_exception_fp_denorm_src 0
		.amdhsa_exception_fp_ieee_div_zero 0
		.amdhsa_exception_fp_ieee_overflow 0
		.amdhsa_exception_fp_ieee_underflow 0
		.amdhsa_exception_fp_ieee_inexact 0
		.amdhsa_exception_int_div_zero 0
	.end_amdhsa_kernel
	.section	.text._ZN2at6native12cross_kernelIi16OffsetCalculatorILi3EjLb0EElEEviPT_PKS4_S7_T0_T1_S9_S9_,"axG",@progbits,_ZN2at6native12cross_kernelIi16OffsetCalculatorILi3EjLb0EElEEviPT_PKS4_S7_T0_T1_S9_S9_,comdat
.Lfunc_end4:
	.size	_ZN2at6native12cross_kernelIi16OffsetCalculatorILi3EjLb0EElEEviPT_PKS4_S7_T0_T1_S9_S9_, .Lfunc_end4-_ZN2at6native12cross_kernelIi16OffsetCalculatorILi3EjLb0EElEEviPT_PKS4_S7_T0_T1_S9_S9_
                                        ; -- End function
	.section	.AMDGPU.csdata,"",@progbits
; Kernel info:
; codeLenInByte = 1220
; NumSgprs: 54
; NumVgprs: 15
; ScratchSize: 0
; MemoryBound: 0
; FloatMode: 240
; IeeeMode: 1
; LDSByteSize: 0 bytes/workgroup (compile time only)
; SGPRBlocks: 6
; VGPRBlocks: 1
; NumSGPRsForWavesPerEU: 54
; NumVGPRsForWavesPerEU: 15
; Occupancy: 16
; WaveLimiterHint : 1
; COMPUTE_PGM_RSRC2:SCRATCH_EN: 0
; COMPUTE_PGM_RSRC2:USER_SGPR: 15
; COMPUTE_PGM_RSRC2:TRAP_HANDLER: 0
; COMPUTE_PGM_RSRC2:TGID_X_EN: 1
; COMPUTE_PGM_RSRC2:TGID_Y_EN: 0
; COMPUTE_PGM_RSRC2:TGID_Z_EN: 0
; COMPUTE_PGM_RSRC2:TIDIG_COMP_CNT: 0
	.section	.text._ZN2at6native12cross_kernelIi16OffsetCalculatorILi3EjLb0EEiEEviPT_PKS4_S7_T0_T1_S9_S9_,"axG",@progbits,_ZN2at6native12cross_kernelIi16OffsetCalculatorILi3EjLb0EEiEEviPT_PKS4_S7_T0_T1_S9_S9_,comdat
	.protected	_ZN2at6native12cross_kernelIi16OffsetCalculatorILi3EjLb0EEiEEviPT_PKS4_S7_T0_T1_S9_S9_ ; -- Begin function _ZN2at6native12cross_kernelIi16OffsetCalculatorILi3EjLb0EEiEEviPT_PKS4_S7_T0_T1_S9_S9_
	.globl	_ZN2at6native12cross_kernelIi16OffsetCalculatorILi3EjLb0EEiEEviPT_PKS4_S7_T0_T1_S9_S9_
	.p2align	8
	.type	_ZN2at6native12cross_kernelIi16OffsetCalculatorILi3EjLb0EEiEEviPT_PKS4_S7_T0_T1_S9_S9_,@function
_ZN2at6native12cross_kernelIi16OffsetCalculatorILi3EjLb0EEiEEviPT_PKS4_S7_T0_T1_S9_S9_: ; @_ZN2at6native12cross_kernelIi16OffsetCalculatorILi3EjLb0EEiEEviPT_PKS4_S7_T0_T1_S9_S9_
; %bb.0:
	s_clause 0x1
	s_load_b32 s2, s[0:1], 0x0
	s_load_b32 s4, s[0:1], 0x1bc
	v_mov_b32_e32 v1, 0
	s_waitcnt lgkmcnt(0)
	s_ashr_i32 s3, s2, 31
	s_add_u32 s12, s0, 0x1b0
	s_addc_u32 s13, s1, 0
	s_and_b32 s28, s4, 0xffff
	s_mov_b32 s4, exec_lo
	v_mad_u64_u32 v[2:3], null, s28, s15, v[0:1]
	s_delay_alu instid0(VALU_DEP_1)
	v_cmpx_gt_i64_e64 s[2:3], v[2:3]
	s_cbranch_execz .LBB5_13
; %bb.1:
	s_clause 0x1
	s_load_b256 s[4:11], s[0:1], 0x20
	s_load_b128 s[20:23], s[0:1], 0x1a4
	s_waitcnt lgkmcnt(0)
	s_load_b32 s23, s[12:13], 0x0
	s_clause 0x3
	s_load_b128 s[12:15], s[0:1], 0x8
	s_load_b64 s[24:25], s[0:1], 0x18
	s_load_b128 s[16:19], s[0:1], 0xe4
	s_load_b64 s[26:27], s[0:1], 0xf4
	s_mov_b32 s11, 0
	s_add_i32 s29, s4, -1
	s_waitcnt lgkmcnt(0)
	s_mul_i32 s33, s23, s28
	s_cmp_gt_u32 s29, 1
	s_mov_b32 s30, s21
	s_cselect_b32 s34, -1, 0
	s_cmp_lg_u32 s4, 0
	s_cselect_b32 s35, -1, 0
	s_min_u32 s23, s29, 15
	s_cmp_gt_u32 s4, 1
	s_cselect_b32 s4, -1, 0
	s_lshl_b32 s40, s22, 1
	s_add_i32 s28, s23, 1
	s_ashr_i32 s31, s21, 31
	s_ashr_i32 s21, s20, 31
	;; [unrolled: 1-line block ×3, first 2 shown]
	s_and_b32 s36, s28, 30
	s_bitcmp0_b32 s23, 0
	s_cselect_b32 s37, -1, 0
	s_ashr_i32 s23, s22, 31
	s_lshl_b64 s[28:29], s[30:31], 2
	s_lshl_b64 s[22:23], s[22:23], 2
	s_delay_alu instid0(SALU_CYCLE_1)
	s_sub_u32 s38, 0, s22
	s_subb_u32 s39, 0, s23
	s_lshl_b64 s[20:21], s[20:21], 2
	s_add_u32 s22, s0, 12
	s_addc_u32 s23, s1, 0
	s_lshl_b64 s[30:31], s[40:41], 2
	s_branch .LBB5_3
.LBB5_2:                                ;   in Loop: Header=BB5_3 Depth=1
	v_mov_b32_e32 v7, v1
	v_mov_b32_e32 v5, v1
	s_delay_alu instid0(VALU_DEP_2) | instskip(NEXT) | instid1(VALU_DEP_2)
	v_lshlrev_b64 v[6:7], 2, v[6:7]
	v_lshlrev_b64 v[4:5], 2, v[4:5]
	s_delay_alu instid0(VALU_DEP_2) | instskip(NEXT) | instid1(VALU_DEP_3)
	v_add_co_u32 v6, vcc_lo, s14, v6
	v_add_co_ci_u32_e32 v7, vcc_lo, s15, v7, vcc_lo
	s_delay_alu instid0(VALU_DEP_3) | instskip(NEXT) | instid1(VALU_DEP_4)
	v_add_co_u32 v4, vcc_lo, s24, v4
	v_add_co_ci_u32_e32 v5, vcc_lo, s25, v5, vcc_lo
	s_delay_alu instid0(VALU_DEP_4) | instskip(NEXT) | instid1(VALU_DEP_4)
	v_add_co_u32 v8, vcc_lo, v6, s28
	v_add_co_ci_u32_e32 v9, vcc_lo, s29, v7, vcc_lo
	s_delay_alu instid0(VALU_DEP_4) | instskip(NEXT) | instid1(VALU_DEP_4)
	v_add_co_u32 v10, vcc_lo, v4, s30
	v_add_co_ci_u32_e32 v11, vcc_lo, s31, v5, vcc_lo
	global_load_b32 v14, v[8:9], off
	v_add_co_u32 v8, vcc_lo, v8, s28
	v_add_co_ci_u32_e32 v9, vcc_lo, s29, v9, vcc_lo
	v_add_co_u32 v12, vcc_lo, v10, s38
	v_add_co_ci_u32_e32 v13, vcc_lo, s39, v11, vcc_lo
	global_load_b32 v10, v[10:11], off
	s_clause 0x1
	global_load_b32 v8, v[8:9], off
	global_load_b32 v9, v[6:7], off
	s_clause 0x1
	global_load_b32 v11, v[4:5], off
	global_load_b32 v12, v[12:13], off
	v_lshlrev_b64 v[4:5], 2, v[0:1]
	s_delay_alu instid0(VALU_DEP_1) | instskip(NEXT) | instid1(VALU_DEP_2)
	v_add_co_u32 v4, vcc_lo, s12, v4
	v_add_co_ci_u32_e32 v5, vcc_lo, s13, v5, vcc_lo
	v_add_co_u32 v2, vcc_lo, v2, s33
	v_add_co_ci_u32_e32 v3, vcc_lo, 0, v3, vcc_lo
	s_delay_alu instid0(VALU_DEP_4) | instskip(NEXT) | instid1(VALU_DEP_4)
	v_add_co_u32 v6, vcc_lo, v4, s20
	v_add_co_ci_u32_e32 v7, vcc_lo, s21, v5, vcc_lo
	s_delay_alu instid0(VALU_DEP_3)
	v_cmp_le_i64_e32 vcc_lo, s[2:3], v[2:3]
	s_or_b32 s11, vcc_lo, s11
	s_waitcnt vmcnt(4)
	v_mul_lo_u32 v0, v10, v14
	s_waitcnt vmcnt(2)
	v_mul_lo_u32 v10, v9, v10
	;; [unrolled: 2-line block ×4, first 2 shown]
	v_mul_lo_u32 v11, v11, v8
	v_mul_lo_u32 v12, v9, v12
	v_add_co_u32 v8, s0, v6, s20
	s_delay_alu instid0(VALU_DEP_1)
	v_add_co_ci_u32_e64 v9, s0, s21, v7, s0
	v_sub_nc_u32_e32 v0, v0, v14
	v_sub_nc_u32_e32 v10, v11, v10
	;; [unrolled: 1-line block ×3, first 2 shown]
	s_clause 0x2
	global_store_b32 v[4:5], v0, off
	global_store_b32 v[6:7], v10, off
	;; [unrolled: 1-line block ×3, first 2 shown]
	s_and_not1_b32 exec_lo, exec_lo, s11
	s_cbranch_execz .LBB5_13
.LBB5_3:                                ; =>This Loop Header: Depth=1
                                        ;     Child Loop BB5_6 Depth 2
	s_and_not1_b32 vcc_lo, exec_lo, s34
	s_cbranch_vccnz .LBB5_9
; %bb.4:                                ;   in Loop: Header=BB5_3 Depth=1
	v_mov_b32_e32 v0, 0
	v_mov_b32_e32 v6, 0
	;; [unrolled: 1-line block ×3, first 2 shown]
	s_and_not1_b32 vcc_lo, exec_lo, s35
	s_mov_b32 s40, 0
	s_cbranch_vccnz .LBB5_10
; %bb.5:                                ;   in Loop: Header=BB5_3 Depth=1
	v_dual_mov_b32 v4, 0 :: v_dual_mov_b32 v5, v2
	v_mov_b32_e32 v6, 0
	s_mov_b32 s41, s36
	s_mov_b64 s[0:1], s[22:23]
	s_delay_alu instid0(VALU_DEP_2)
	v_mov_b32_e32 v0, v4
	s_set_inst_prefetch_distance 0x1
	.p2align	6
.LBB5_6:                                ;   Parent Loop BB5_3 Depth=1
                                        ; =>  This Inner Loop Header: Depth=2
	s_clause 0x2
	s_load_b128 s[44:47], s[0:1], 0x18
	s_load_b64 s[42:43], s[0:1], 0x28
	s_load_b128 s[48:51], s[0:1], 0xd8
	s_waitcnt lgkmcnt(0)
	v_mul_hi_u32 v7, s45, v5
	s_delay_alu instid0(VALU_DEP_1) | instskip(NEXT) | instid1(VALU_DEP_1)
	v_add_nc_u32_e32 v7, v5, v7
	v_lshrrev_b32_e32 v7, s46, v7
	s_delay_alu instid0(VALU_DEP_1)
	v_mul_hi_u32 v8, s42, v7
	v_mul_lo_u32 v9, v7, s44
	s_load_b64 s[44:45], s[0:1], 0xe8
	s_add_u32 s0, s0, 24
	s_addc_u32 s1, s1, 0
	s_add_i32 s41, s41, -2
	s_delay_alu instid0(SALU_CYCLE_1) | instskip(NEXT) | instid1(VALU_DEP_2)
	s_cmp_lg_u32 s41, 0
	v_add_nc_u32_e32 v8, v7, v8
	s_delay_alu instid0(VALU_DEP_2) | instskip(NEXT) | instid1(VALU_DEP_2)
	v_sub_nc_u32_e32 v9, v5, v9
	v_lshrrev_b32_e32 v5, s43, v8
	s_delay_alu instid0(VALU_DEP_2) | instskip(NEXT) | instid1(VALU_DEP_2)
	v_mul_lo_u32 v10, v9, s48
	v_mul_lo_u32 v8, v5, s47
	s_delay_alu instid0(VALU_DEP_1) | instskip(SKIP_2) | instid1(VALU_DEP_3)
	v_sub_nc_u32_e32 v7, v7, v8
	v_mul_lo_u32 v8, v9, s49
	v_mul_lo_u32 v9, v9, s50
	;; [unrolled: 1-line block ×3, first 2 shown]
	s_waitcnt lgkmcnt(0)
	v_mul_lo_u32 v12, v7, s44
	v_mul_lo_u32 v7, v7, s45
	s_delay_alu instid0(VALU_DEP_3) | instskip(NEXT) | instid1(VALU_DEP_3)
	v_add3_u32 v0, v10, v0, v11
	v_add3_u32 v6, v8, v6, v12
	s_delay_alu instid0(VALU_DEP_3)
	v_add3_u32 v4, v9, v4, v7
	s_cbranch_scc1 .LBB5_6
; %bb.7:                                ;   in Loop: Header=BB5_3 Depth=1
	s_set_inst_prefetch_distance 0x2
	s_and_not1_b32 vcc_lo, exec_lo, s37
	s_cbranch_vccnz .LBB5_10
; %bb.8:                                ;   in Loop: Header=BB5_3 Depth=1
	s_clause 0x3
	s_load_b64 s[42:43], s[0:1], 0x18
	s_load_b32 s41, s[0:1], 0x20
	s_load_b64 s[44:45], s[0:1], 0xd8
	s_load_b32 s0, s[0:1], 0xe0
	s_waitcnt lgkmcnt(0)
	v_mul_hi_u32 v7, s43, v5
	s_delay_alu instid0(VALU_DEP_1) | instskip(NEXT) | instid1(VALU_DEP_1)
	v_add_nc_u32_e32 v7, v5, v7
	v_lshrrev_b32_e32 v7, s41, v7
	s_delay_alu instid0(VALU_DEP_1) | instskip(NEXT) | instid1(VALU_DEP_1)
	v_mul_lo_u32 v7, v7, s42
	v_sub_nc_u32_e32 v10, v5, v7
	s_delay_alu instid0(VALU_DEP_1) | instskip(NEXT) | instid1(VALU_DEP_1)
	v_mad_u64_u32 v[7:8], null, v10, s44, v[0:1]
	v_mad_u64_u32 v[8:9], null, v10, s45, v[6:7]
	;; [unrolled: 1-line block ×3, first 2 shown]
	v_mov_b32_e32 v0, v7
	s_delay_alu instid0(VALU_DEP_3) | instskip(NEXT) | instid1(VALU_DEP_3)
	v_mov_b32_e32 v6, v8
	v_mov_b32_e32 v4, v5
	s_branch .LBB5_10
.LBB5_9:                                ;   in Loop: Header=BB5_3 Depth=1
	s_mov_b32 s40, -1
                                        ; implicit-def: $vgpr6
                                        ; implicit-def: $vgpr4
.LBB5_10:                               ;   in Loop: Header=BB5_3 Depth=1
	s_delay_alu instid0(SALU_CYCLE_1)
	s_and_not1_b32 vcc_lo, exec_lo, s40
	s_cbranch_vccnz .LBB5_2
; %bb.11:                               ;   in Loop: Header=BB5_3 Depth=1
	v_mul_hi_u32 v0, v2, s6
	s_and_not1_b32 vcc_lo, exec_lo, s4
	s_delay_alu instid0(VALU_DEP_1) | instskip(NEXT) | instid1(VALU_DEP_1)
	v_add_nc_u32_e32 v0, v0, v2
	v_lshrrev_b32_e32 v5, s7, v0
	s_delay_alu instid0(VALU_DEP_1) | instskip(NEXT) | instid1(VALU_DEP_1)
	v_mul_lo_u32 v0, v5, s5
	v_sub_nc_u32_e32 v4, v2, v0
	s_delay_alu instid0(VALU_DEP_1)
	v_mul_lo_u32 v0, v4, s16
	v_mul_lo_u32 v6, v4, s17
	;; [unrolled: 1-line block ×3, first 2 shown]
	s_cbranch_vccnz .LBB5_2
; %bb.12:                               ;   in Loop: Header=BB5_3 Depth=1
	v_mul_hi_u32 v7, s9, v5
	s_delay_alu instid0(VALU_DEP_1) | instskip(NEXT) | instid1(VALU_DEP_1)
	v_add_nc_u32_e32 v7, v5, v7
	v_lshrrev_b32_e32 v7, s10, v7
	s_delay_alu instid0(VALU_DEP_1) | instskip(NEXT) | instid1(VALU_DEP_1)
	v_mul_lo_u32 v7, v7, s8
	v_sub_nc_u32_e32 v10, v5, v7
	s_delay_alu instid0(VALU_DEP_1) | instskip(NEXT) | instid1(VALU_DEP_1)
	v_mad_u64_u32 v[7:8], null, v10, s19, v[0:1]
	v_mad_u64_u32 v[8:9], null, v10, s26, v[6:7]
	;; [unrolled: 1-line block ×3, first 2 shown]
	v_mov_b32_e32 v0, v7
	s_delay_alu instid0(VALU_DEP_3) | instskip(NEXT) | instid1(VALU_DEP_3)
	v_mov_b32_e32 v6, v8
	v_mov_b32_e32 v4, v5
	s_branch .LBB5_2
.LBB5_13:
	s_nop 0
	s_sendmsg sendmsg(MSG_DEALLOC_VGPRS)
	s_endpgm
	.section	.rodata,"a",@progbits
	.p2align	6, 0x0
	.amdhsa_kernel _ZN2at6native12cross_kernelIi16OffsetCalculatorILi3EjLb0EEiEEviPT_PKS4_S7_T0_T1_S9_S9_
		.amdhsa_group_segment_fixed_size 0
		.amdhsa_private_segment_fixed_size 0
		.amdhsa_kernarg_size 688
		.amdhsa_user_sgpr_count 15
		.amdhsa_user_sgpr_dispatch_ptr 0
		.amdhsa_user_sgpr_queue_ptr 0
		.amdhsa_user_sgpr_kernarg_segment_ptr 1
		.amdhsa_user_sgpr_dispatch_id 0
		.amdhsa_user_sgpr_private_segment_size 0
		.amdhsa_wavefront_size32 1
		.amdhsa_uses_dynamic_stack 0
		.amdhsa_enable_private_segment 0
		.amdhsa_system_sgpr_workgroup_id_x 1
		.amdhsa_system_sgpr_workgroup_id_y 0
		.amdhsa_system_sgpr_workgroup_id_z 0
		.amdhsa_system_sgpr_workgroup_info 0
		.amdhsa_system_vgpr_workitem_id 0
		.amdhsa_next_free_vgpr 15
		.amdhsa_next_free_sgpr 52
		.amdhsa_reserve_vcc 1
		.amdhsa_float_round_mode_32 0
		.amdhsa_float_round_mode_16_64 0
		.amdhsa_float_denorm_mode_32 3
		.amdhsa_float_denorm_mode_16_64 3
		.amdhsa_dx10_clamp 1
		.amdhsa_ieee_mode 1
		.amdhsa_fp16_overflow 0
		.amdhsa_workgroup_processor_mode 1
		.amdhsa_memory_ordered 1
		.amdhsa_forward_progress 0
		.amdhsa_shared_vgpr_count 0
		.amdhsa_exception_fp_ieee_invalid_op 0
		.amdhsa_exception_fp_denorm_src 0
		.amdhsa_exception_fp_ieee_div_zero 0
		.amdhsa_exception_fp_ieee_overflow 0
		.amdhsa_exception_fp_ieee_underflow 0
		.amdhsa_exception_fp_ieee_inexact 0
		.amdhsa_exception_int_div_zero 0
	.end_amdhsa_kernel
	.section	.text._ZN2at6native12cross_kernelIi16OffsetCalculatorILi3EjLb0EEiEEviPT_PKS4_S7_T0_T1_S9_S9_,"axG",@progbits,_ZN2at6native12cross_kernelIi16OffsetCalculatorILi3EjLb0EEiEEviPT_PKS4_S7_T0_T1_S9_S9_,comdat
.Lfunc_end5:
	.size	_ZN2at6native12cross_kernelIi16OffsetCalculatorILi3EjLb0EEiEEviPT_PKS4_S7_T0_T1_S9_S9_, .Lfunc_end5-_ZN2at6native12cross_kernelIi16OffsetCalculatorILi3EjLb0EEiEEviPT_PKS4_S7_T0_T1_S9_S9_
                                        ; -- End function
	.section	.AMDGPU.csdata,"",@progbits
; Kernel info:
; codeLenInByte = 1248
; NumSgprs: 54
; NumVgprs: 15
; ScratchSize: 0
; MemoryBound: 0
; FloatMode: 240
; IeeeMode: 1
; LDSByteSize: 0 bytes/workgroup (compile time only)
; SGPRBlocks: 6
; VGPRBlocks: 1
; NumSGPRsForWavesPerEU: 54
; NumVGPRsForWavesPerEU: 15
; Occupancy: 16
; WaveLimiterHint : 1
; COMPUTE_PGM_RSRC2:SCRATCH_EN: 0
; COMPUTE_PGM_RSRC2:USER_SGPR: 15
; COMPUTE_PGM_RSRC2:TRAP_HANDLER: 0
; COMPUTE_PGM_RSRC2:TGID_X_EN: 1
; COMPUTE_PGM_RSRC2:TGID_Y_EN: 0
; COMPUTE_PGM_RSRC2:TGID_Z_EN: 0
; COMPUTE_PGM_RSRC2:TIDIG_COMP_CNT: 0
	.section	.text._ZN2at6native12cross_kernelIl16OffsetCalculatorILi3EjLb0EElEEviPT_PKS4_S7_T0_T1_S9_S9_,"axG",@progbits,_ZN2at6native12cross_kernelIl16OffsetCalculatorILi3EjLb0EElEEviPT_PKS4_S7_T0_T1_S9_S9_,comdat
	.protected	_ZN2at6native12cross_kernelIl16OffsetCalculatorILi3EjLb0EElEEviPT_PKS4_S7_T0_T1_S9_S9_ ; -- Begin function _ZN2at6native12cross_kernelIl16OffsetCalculatorILi3EjLb0EElEEviPT_PKS4_S7_T0_T1_S9_S9_
	.globl	_ZN2at6native12cross_kernelIl16OffsetCalculatorILi3EjLb0EElEEviPT_PKS4_S7_T0_T1_S9_S9_
	.p2align	8
	.type	_ZN2at6native12cross_kernelIl16OffsetCalculatorILi3EjLb0EElEEviPT_PKS4_S7_T0_T1_S9_S9_,@function
_ZN2at6native12cross_kernelIl16OffsetCalculatorILi3EjLb0EElEEviPT_PKS4_S7_T0_T1_S9_S9_: ; @_ZN2at6native12cross_kernelIl16OffsetCalculatorILi3EjLb0EElEEviPT_PKS4_S7_T0_T1_S9_S9_
; %bb.0:
	s_clause 0x1
	s_load_b32 s2, s[0:1], 0x0
	s_load_b32 s4, s[0:1], 0x1cc
	v_mov_b32_e32 v1, 0
	s_waitcnt lgkmcnt(0)
	s_ashr_i32 s3, s2, 31
	s_add_u32 s12, s0, 0x1c0
	s_addc_u32 s13, s1, 0
	s_and_b32 s28, s4, 0xffff
	s_mov_b32 s4, exec_lo
	v_mad_u64_u32 v[2:3], null, s28, s15, v[0:1]
	s_delay_alu instid0(VALU_DEP_1)
	v_cmpx_gt_i64_e64 s[2:3], v[2:3]
	s_cbranch_execz .LBB6_13
; %bb.1:
	s_load_b256 s[4:11], s[0:1], 0x20
	s_load_b32 s29, s[12:13], 0x0
	s_clause 0x5
	s_load_b64 s[30:31], s[0:1], 0x1b8
	s_load_b128 s[12:15], s[0:1], 0x8
	s_load_b64 s[24:25], s[0:1], 0x18
	s_load_b128 s[20:23], s[0:1], 0x1a8
	s_load_b128 s[16:19], s[0:1], 0xe4
	s_load_b64 s[26:27], s[0:1], 0xf4
	s_waitcnt lgkmcnt(0)
	s_mov_b32 s11, 0
	s_add_i32 s36, s4, -1
	s_mul_i32 s33, s29, s28
	s_cmp_gt_u32 s36, 1
	s_cselect_b32 s34, -1, 0
	s_cmp_lg_u32 s4, 0
	s_cselect_b32 s35, -1, 0
	s_min_u32 s37, s36, 15
	s_cmp_gt_u32 s4, 1
	s_cselect_b32 s4, -1, 0
	s_add_i32 s36, s37, 1
	s_lshl_b64 s[28:29], s[30:31], 4
	s_and_b32 s36, s36, 30
	s_bitcmp0_b32 s37, 0
	s_cselect_b32 s37, -1, 0
	s_lshl_b64 s[30:31], s[30:31], 3
	s_lshl_b64 s[22:23], s[22:23], 3
	s_sub_u32 s38, 0, s30
	s_subb_u32 s39, 0, s31
	s_lshl_b64 s[20:21], s[20:21], 3
	s_add_u32 s30, s0, 12
	s_addc_u32 s31, s1, 0
	s_branch .LBB6_3
.LBB6_2:                                ;   in Loop: Header=BB6_3 Depth=1
	v_mov_b32_e32 v7, v1
	v_mov_b32_e32 v5, v1
	v_lshlrev_b64 v[16:17], 3, v[0:1]
	s_delay_alu instid0(VALU_DEP_3) | instskip(NEXT) | instid1(VALU_DEP_3)
	v_lshlrev_b64 v[6:7], 3, v[6:7]
	v_lshlrev_b64 v[4:5], 3, v[4:5]
	s_delay_alu instid0(VALU_DEP_2) | instskip(NEXT) | instid1(VALU_DEP_3)
	v_add_co_u32 v6, vcc_lo, s14, v6
	v_add_co_ci_u32_e32 v7, vcc_lo, s15, v7, vcc_lo
	s_delay_alu instid0(VALU_DEP_3) | instskip(NEXT) | instid1(VALU_DEP_4)
	v_add_co_u32 v4, vcc_lo, s24, v4
	v_add_co_ci_u32_e32 v5, vcc_lo, s25, v5, vcc_lo
	s_delay_alu instid0(VALU_DEP_4) | instskip(NEXT) | instid1(VALU_DEP_4)
	v_add_co_u32 v8, vcc_lo, v6, s22
	v_add_co_ci_u32_e32 v9, vcc_lo, s23, v7, vcc_lo
	s_delay_alu instid0(VALU_DEP_4) | instskip(NEXT) | instid1(VALU_DEP_4)
	v_add_co_u32 v10, vcc_lo, v4, s28
	v_add_co_ci_u32_e32 v11, vcc_lo, s29, v5, vcc_lo
	global_load_b64 v[12:13], v[8:9], off
	global_load_b64 v[14:15], v[10:11], off
	v_add_co_u32 v8, vcc_lo, v8, s22
	v_add_co_ci_u32_e32 v9, vcc_lo, s23, v9, vcc_lo
	v_add_co_u32 v10, vcc_lo, v10, s38
	v_add_co_ci_u32_e32 v11, vcc_lo, s39, v11, vcc_lo
	global_load_b64 v[6:7], v[6:7], off
	global_load_b64 v[4:5], v[4:5], off
	;; [unrolled: 1-line block ×4, first 2 shown]
	v_add_co_u32 v2, vcc_lo, v2, s33
	v_add_co_ci_u32_e32 v3, vcc_lo, 0, v3, vcc_lo
	v_add_co_u32 v16, vcc_lo, s12, v16
	v_add_co_ci_u32_e32 v17, vcc_lo, s13, v17, vcc_lo
	s_delay_alu instid0(VALU_DEP_3) | instskip(NEXT) | instid1(VALU_DEP_3)
	v_cmp_le_i64_e32 vcc_lo, s[2:3], v[2:3]
	v_add_co_u32 v18, s0, v16, s20
	s_delay_alu instid0(VALU_DEP_1)
	v_add_co_ci_u32_e64 v19, s0, s21, v17, s0
	s_or_b32 s11, vcc_lo, s11
	s_waitcnt vmcnt(4)
	v_mul_lo_u32 v0, v15, v12
	v_mul_lo_u32 v28, v14, v13
	v_mad_u64_u32 v[20:21], null, v14, v12, 0
	s_waitcnt vmcnt(2)
	v_mul_lo_u32 v30, v5, v12
	v_mul_lo_u32 v29, v7, v14
	v_mad_u64_u32 v[22:23], null, v6, v14, 0
	v_mul_lo_u32 v31, v4, v13
	v_mad_u64_u32 v[13:14], null, v4, v12, 0
	s_waitcnt vmcnt(0)
	v_mul_lo_u32 v12, v11, v8
	v_mul_lo_u32 v32, v10, v9
	v_mad_u64_u32 v[24:25], null, v10, v8, 0
	v_mul_lo_u32 v15, v6, v15
	v_mul_lo_u32 v33, v5, v8
	v_mul_lo_u32 v9, v4, v9
	v_mad_u64_u32 v[26:27], null, v4, v8, 0
	v_mul_lo_u32 v8, v7, v10
	v_mul_lo_u32 v11, v6, v11
	v_mad_u64_u32 v[4:5], null, v6, v10, 0
	v_add_co_u32 v6, s0, v18, s20
	v_add3_u32 v0, v21, v28, v0
	v_add3_u32 v10, v25, v32, v12
	v_add_co_ci_u32_e64 v7, s0, s21, v19, s0
	v_add3_u32 v15, v23, v15, v29
	v_add3_u32 v12, v27, v9, v33
	;; [unrolled: 1-line block ×3, first 2 shown]
	v_sub_co_u32 v8, s0, v20, v24
	s_delay_alu instid0(VALU_DEP_1) | instskip(SKIP_2) | instid1(VALU_DEP_1)
	v_sub_co_ci_u32_e64 v9, s0, v0, v10, s0
	v_add3_u32 v14, v14, v31, v30
	v_sub_co_u32 v10, s0, v26, v22
	v_sub_co_ci_u32_e64 v11, s0, v12, v15, s0
	v_sub_co_u32 v4, s0, v4, v13
	s_delay_alu instid0(VALU_DEP_1)
	v_sub_co_ci_u32_e64 v5, s0, v5, v14, s0
	s_clause 0x2
	global_store_b64 v[16:17], v[8:9], off
	global_store_b64 v[18:19], v[10:11], off
	;; [unrolled: 1-line block ×3, first 2 shown]
	s_and_not1_b32 exec_lo, exec_lo, s11
	s_cbranch_execz .LBB6_13
.LBB6_3:                                ; =>This Loop Header: Depth=1
                                        ;     Child Loop BB6_6 Depth 2
	s_and_not1_b32 vcc_lo, exec_lo, s34
	s_cbranch_vccnz .LBB6_9
; %bb.4:                                ;   in Loop: Header=BB6_3 Depth=1
	v_mov_b32_e32 v0, 0
	v_mov_b32_e32 v6, 0
	;; [unrolled: 1-line block ×3, first 2 shown]
	s_and_not1_b32 vcc_lo, exec_lo, s35
	s_mov_b32 s40, 0
	s_cbranch_vccnz .LBB6_10
; %bb.5:                                ;   in Loop: Header=BB6_3 Depth=1
	v_dual_mov_b32 v4, 0 :: v_dual_mov_b32 v5, v2
	v_mov_b32_e32 v6, 0
	s_mov_b32 s41, s36
	s_mov_b64 s[0:1], s[30:31]
	s_delay_alu instid0(VALU_DEP_2)
	v_mov_b32_e32 v0, v4
	s_set_inst_prefetch_distance 0x1
	.p2align	6
.LBB6_6:                                ;   Parent Loop BB6_3 Depth=1
                                        ; =>  This Inner Loop Header: Depth=2
	s_clause 0x2
	s_load_b128 s[44:47], s[0:1], 0x18
	s_load_b64 s[42:43], s[0:1], 0x28
	s_load_b128 s[48:51], s[0:1], 0xd8
	s_waitcnt lgkmcnt(0)
	v_mul_hi_u32 v7, s45, v5
	s_delay_alu instid0(VALU_DEP_1) | instskip(NEXT) | instid1(VALU_DEP_1)
	v_add_nc_u32_e32 v7, v5, v7
	v_lshrrev_b32_e32 v7, s46, v7
	s_delay_alu instid0(VALU_DEP_1)
	v_mul_hi_u32 v8, s42, v7
	v_mul_lo_u32 v9, v7, s44
	s_load_b64 s[44:45], s[0:1], 0xe8
	s_add_u32 s0, s0, 24
	s_addc_u32 s1, s1, 0
	s_add_i32 s41, s41, -2
	s_delay_alu instid0(SALU_CYCLE_1) | instskip(NEXT) | instid1(VALU_DEP_2)
	s_cmp_lg_u32 s41, 0
	v_add_nc_u32_e32 v8, v7, v8
	s_delay_alu instid0(VALU_DEP_2) | instskip(NEXT) | instid1(VALU_DEP_2)
	v_sub_nc_u32_e32 v9, v5, v9
	v_lshrrev_b32_e32 v5, s43, v8
	s_delay_alu instid0(VALU_DEP_2) | instskip(NEXT) | instid1(VALU_DEP_2)
	v_mul_lo_u32 v10, v9, s48
	v_mul_lo_u32 v8, v5, s47
	s_delay_alu instid0(VALU_DEP_1) | instskip(SKIP_2) | instid1(VALU_DEP_3)
	v_sub_nc_u32_e32 v7, v7, v8
	v_mul_lo_u32 v8, v9, s49
	v_mul_lo_u32 v9, v9, s50
	;; [unrolled: 1-line block ×3, first 2 shown]
	s_waitcnt lgkmcnt(0)
	v_mul_lo_u32 v12, v7, s44
	v_mul_lo_u32 v7, v7, s45
	s_delay_alu instid0(VALU_DEP_3) | instskip(NEXT) | instid1(VALU_DEP_3)
	v_add3_u32 v0, v10, v0, v11
	v_add3_u32 v6, v8, v6, v12
	s_delay_alu instid0(VALU_DEP_3)
	v_add3_u32 v4, v9, v4, v7
	s_cbranch_scc1 .LBB6_6
; %bb.7:                                ;   in Loop: Header=BB6_3 Depth=1
	s_set_inst_prefetch_distance 0x2
	s_and_not1_b32 vcc_lo, exec_lo, s37
	s_cbranch_vccnz .LBB6_10
; %bb.8:                                ;   in Loop: Header=BB6_3 Depth=1
	s_clause 0x3
	s_load_b64 s[42:43], s[0:1], 0x18
	s_load_b32 s41, s[0:1], 0x20
	s_load_b64 s[44:45], s[0:1], 0xd8
	s_load_b32 s0, s[0:1], 0xe0
	s_waitcnt lgkmcnt(0)
	v_mul_hi_u32 v7, s43, v5
	s_delay_alu instid0(VALU_DEP_1) | instskip(NEXT) | instid1(VALU_DEP_1)
	v_add_nc_u32_e32 v7, v5, v7
	v_lshrrev_b32_e32 v7, s41, v7
	s_delay_alu instid0(VALU_DEP_1) | instskip(NEXT) | instid1(VALU_DEP_1)
	v_mul_lo_u32 v7, v7, s42
	v_sub_nc_u32_e32 v10, v5, v7
	s_delay_alu instid0(VALU_DEP_1) | instskip(NEXT) | instid1(VALU_DEP_1)
	v_mad_u64_u32 v[7:8], null, v10, s44, v[0:1]
	v_mad_u64_u32 v[8:9], null, v10, s45, v[6:7]
	;; [unrolled: 1-line block ×3, first 2 shown]
	v_mov_b32_e32 v0, v7
	s_delay_alu instid0(VALU_DEP_3) | instskip(NEXT) | instid1(VALU_DEP_3)
	v_mov_b32_e32 v6, v8
	v_mov_b32_e32 v4, v5
	s_branch .LBB6_10
.LBB6_9:                                ;   in Loop: Header=BB6_3 Depth=1
	s_mov_b32 s40, -1
                                        ; implicit-def: $vgpr6
                                        ; implicit-def: $vgpr4
.LBB6_10:                               ;   in Loop: Header=BB6_3 Depth=1
	s_delay_alu instid0(SALU_CYCLE_1)
	s_and_not1_b32 vcc_lo, exec_lo, s40
	s_cbranch_vccnz .LBB6_2
; %bb.11:                               ;   in Loop: Header=BB6_3 Depth=1
	v_mul_hi_u32 v0, v2, s6
	s_and_not1_b32 vcc_lo, exec_lo, s4
	s_delay_alu instid0(VALU_DEP_1) | instskip(NEXT) | instid1(VALU_DEP_1)
	v_add_nc_u32_e32 v0, v0, v2
	v_lshrrev_b32_e32 v5, s7, v0
	s_delay_alu instid0(VALU_DEP_1) | instskip(NEXT) | instid1(VALU_DEP_1)
	v_mul_lo_u32 v0, v5, s5
	v_sub_nc_u32_e32 v4, v2, v0
	s_delay_alu instid0(VALU_DEP_1)
	v_mul_lo_u32 v0, v4, s16
	v_mul_lo_u32 v6, v4, s17
	;; [unrolled: 1-line block ×3, first 2 shown]
	s_cbranch_vccnz .LBB6_2
; %bb.12:                               ;   in Loop: Header=BB6_3 Depth=1
	v_mul_hi_u32 v7, s9, v5
	s_delay_alu instid0(VALU_DEP_1) | instskip(NEXT) | instid1(VALU_DEP_1)
	v_add_nc_u32_e32 v7, v5, v7
	v_lshrrev_b32_e32 v7, s10, v7
	s_delay_alu instid0(VALU_DEP_1) | instskip(NEXT) | instid1(VALU_DEP_1)
	v_mul_lo_u32 v7, v7, s8
	v_sub_nc_u32_e32 v10, v5, v7
	s_delay_alu instid0(VALU_DEP_1) | instskip(NEXT) | instid1(VALU_DEP_1)
	v_mad_u64_u32 v[7:8], null, v10, s19, v[0:1]
	v_mad_u64_u32 v[8:9], null, v10, s26, v[6:7]
	;; [unrolled: 1-line block ×3, first 2 shown]
	v_mov_b32_e32 v0, v7
	s_delay_alu instid0(VALU_DEP_3) | instskip(NEXT) | instid1(VALU_DEP_3)
	v_mov_b32_e32 v6, v8
	v_mov_b32_e32 v4, v5
	s_branch .LBB6_2
.LBB6_13:
	s_nop 0
	s_sendmsg sendmsg(MSG_DEALLOC_VGPRS)
	s_endpgm
	.section	.rodata,"a",@progbits
	.p2align	6, 0x0
	.amdhsa_kernel _ZN2at6native12cross_kernelIl16OffsetCalculatorILi3EjLb0EElEEviPT_PKS4_S7_T0_T1_S9_S9_
		.amdhsa_group_segment_fixed_size 0
		.amdhsa_private_segment_fixed_size 0
		.amdhsa_kernarg_size 704
		.amdhsa_user_sgpr_count 15
		.amdhsa_user_sgpr_dispatch_ptr 0
		.amdhsa_user_sgpr_queue_ptr 0
		.amdhsa_user_sgpr_kernarg_segment_ptr 1
		.amdhsa_user_sgpr_dispatch_id 0
		.amdhsa_user_sgpr_private_segment_size 0
		.amdhsa_wavefront_size32 1
		.amdhsa_uses_dynamic_stack 0
		.amdhsa_enable_private_segment 0
		.amdhsa_system_sgpr_workgroup_id_x 1
		.amdhsa_system_sgpr_workgroup_id_y 0
		.amdhsa_system_sgpr_workgroup_id_z 0
		.amdhsa_system_sgpr_workgroup_info 0
		.amdhsa_system_vgpr_workitem_id 0
		.amdhsa_next_free_vgpr 34
		.amdhsa_next_free_sgpr 52
		.amdhsa_reserve_vcc 1
		.amdhsa_float_round_mode_32 0
		.amdhsa_float_round_mode_16_64 0
		.amdhsa_float_denorm_mode_32 3
		.amdhsa_float_denorm_mode_16_64 3
		.amdhsa_dx10_clamp 1
		.amdhsa_ieee_mode 1
		.amdhsa_fp16_overflow 0
		.amdhsa_workgroup_processor_mode 1
		.amdhsa_memory_ordered 1
		.amdhsa_forward_progress 0
		.amdhsa_shared_vgpr_count 0
		.amdhsa_exception_fp_ieee_invalid_op 0
		.amdhsa_exception_fp_denorm_src 0
		.amdhsa_exception_fp_ieee_div_zero 0
		.amdhsa_exception_fp_ieee_overflow 0
		.amdhsa_exception_fp_ieee_underflow 0
		.amdhsa_exception_fp_ieee_inexact 0
		.amdhsa_exception_int_div_zero 0
	.end_amdhsa_kernel
	.section	.text._ZN2at6native12cross_kernelIl16OffsetCalculatorILi3EjLb0EElEEviPT_PKS4_S7_T0_T1_S9_S9_,"axG",@progbits,_ZN2at6native12cross_kernelIl16OffsetCalculatorILi3EjLb0EElEEviPT_PKS4_S7_T0_T1_S9_S9_,comdat
.Lfunc_end6:
	.size	_ZN2at6native12cross_kernelIl16OffsetCalculatorILi3EjLb0EElEEviPT_PKS4_S7_T0_T1_S9_S9_, .Lfunc_end6-_ZN2at6native12cross_kernelIl16OffsetCalculatorILi3EjLb0EElEEviPT_PKS4_S7_T0_T1_S9_S9_
                                        ; -- End function
	.section	.AMDGPU.csdata,"",@progbits
; Kernel info:
; codeLenInByte = 1392
; NumSgprs: 54
; NumVgprs: 34
; ScratchSize: 0
; MemoryBound: 0
; FloatMode: 240
; IeeeMode: 1
; LDSByteSize: 0 bytes/workgroup (compile time only)
; SGPRBlocks: 6
; VGPRBlocks: 4
; NumSGPRsForWavesPerEU: 54
; NumVGPRsForWavesPerEU: 34
; Occupancy: 16
; WaveLimiterHint : 1
; COMPUTE_PGM_RSRC2:SCRATCH_EN: 0
; COMPUTE_PGM_RSRC2:USER_SGPR: 15
; COMPUTE_PGM_RSRC2:TRAP_HANDLER: 0
; COMPUTE_PGM_RSRC2:TGID_X_EN: 1
; COMPUTE_PGM_RSRC2:TGID_Y_EN: 0
; COMPUTE_PGM_RSRC2:TGID_Z_EN: 0
; COMPUTE_PGM_RSRC2:TIDIG_COMP_CNT: 0
	.section	.text._ZN2at6native12cross_kernelIl16OffsetCalculatorILi3EjLb0EEiEEviPT_PKS4_S7_T0_T1_S9_S9_,"axG",@progbits,_ZN2at6native12cross_kernelIl16OffsetCalculatorILi3EjLb0EEiEEviPT_PKS4_S7_T0_T1_S9_S9_,comdat
	.protected	_ZN2at6native12cross_kernelIl16OffsetCalculatorILi3EjLb0EEiEEviPT_PKS4_S7_T0_T1_S9_S9_ ; -- Begin function _ZN2at6native12cross_kernelIl16OffsetCalculatorILi3EjLb0EEiEEviPT_PKS4_S7_T0_T1_S9_S9_
	.globl	_ZN2at6native12cross_kernelIl16OffsetCalculatorILi3EjLb0EEiEEviPT_PKS4_S7_T0_T1_S9_S9_
	.p2align	8
	.type	_ZN2at6native12cross_kernelIl16OffsetCalculatorILi3EjLb0EEiEEviPT_PKS4_S7_T0_T1_S9_S9_,@function
_ZN2at6native12cross_kernelIl16OffsetCalculatorILi3EjLb0EEiEEviPT_PKS4_S7_T0_T1_S9_S9_: ; @_ZN2at6native12cross_kernelIl16OffsetCalculatorILi3EjLb0EEiEEviPT_PKS4_S7_T0_T1_S9_S9_
; %bb.0:
	s_clause 0x1
	s_load_b32 s2, s[0:1], 0x0
	s_load_b32 s4, s[0:1], 0x1bc
	v_mov_b32_e32 v1, 0
	s_waitcnt lgkmcnt(0)
	s_ashr_i32 s3, s2, 31
	s_add_u32 s12, s0, 0x1b0
	s_addc_u32 s13, s1, 0
	s_and_b32 s28, s4, 0xffff
	s_mov_b32 s4, exec_lo
	v_mad_u64_u32 v[2:3], null, s28, s15, v[0:1]
	s_delay_alu instid0(VALU_DEP_1)
	v_cmpx_gt_i64_e64 s[2:3], v[2:3]
	s_cbranch_execz .LBB7_13
; %bb.1:
	s_clause 0x1
	s_load_b256 s[4:11], s[0:1], 0x20
	s_load_b128 s[20:23], s[0:1], 0x1a4
	s_waitcnt lgkmcnt(0)
	s_load_b32 s23, s[12:13], 0x0
	s_clause 0x3
	s_load_b128 s[12:15], s[0:1], 0x8
	s_load_b64 s[24:25], s[0:1], 0x18
	s_load_b128 s[16:19], s[0:1], 0xe4
	s_load_b64 s[26:27], s[0:1], 0xf4
	s_mov_b32 s11, 0
	s_add_i32 s29, s4, -1
	s_waitcnt lgkmcnt(0)
	s_mul_i32 s33, s23, s28
	s_cmp_gt_u32 s29, 1
	s_mov_b32 s30, s21
	s_cselect_b32 s34, -1, 0
	s_cmp_lg_u32 s4, 0
	s_cselect_b32 s35, -1, 0
	s_min_u32 s23, s29, 15
	s_cmp_gt_u32 s4, 1
	s_cselect_b32 s4, -1, 0
	s_lshl_b32 s40, s22, 1
	s_add_i32 s28, s23, 1
	s_ashr_i32 s31, s21, 31
	s_ashr_i32 s21, s20, 31
	;; [unrolled: 1-line block ×3, first 2 shown]
	s_and_b32 s36, s28, 30
	s_bitcmp0_b32 s23, 0
	s_cselect_b32 s37, -1, 0
	s_ashr_i32 s23, s22, 31
	s_lshl_b64 s[28:29], s[30:31], 3
	s_lshl_b64 s[22:23], s[22:23], 3
	s_delay_alu instid0(SALU_CYCLE_1)
	s_sub_u32 s38, 0, s22
	s_subb_u32 s39, 0, s23
	s_lshl_b64 s[20:21], s[20:21], 3
	s_add_u32 s22, s0, 12
	s_addc_u32 s23, s1, 0
	s_lshl_b64 s[30:31], s[40:41], 3
	s_branch .LBB7_3
.LBB7_2:                                ;   in Loop: Header=BB7_3 Depth=1
	v_mov_b32_e32 v7, v1
	v_mov_b32_e32 v5, v1
	v_lshlrev_b64 v[16:17], 3, v[0:1]
	s_delay_alu instid0(VALU_DEP_3) | instskip(NEXT) | instid1(VALU_DEP_3)
	v_lshlrev_b64 v[6:7], 3, v[6:7]
	v_lshlrev_b64 v[4:5], 3, v[4:5]
	s_delay_alu instid0(VALU_DEP_2) | instskip(NEXT) | instid1(VALU_DEP_3)
	v_add_co_u32 v6, vcc_lo, s14, v6
	v_add_co_ci_u32_e32 v7, vcc_lo, s15, v7, vcc_lo
	s_delay_alu instid0(VALU_DEP_3) | instskip(NEXT) | instid1(VALU_DEP_4)
	v_add_co_u32 v4, vcc_lo, s24, v4
	v_add_co_ci_u32_e32 v5, vcc_lo, s25, v5, vcc_lo
	s_delay_alu instid0(VALU_DEP_4) | instskip(NEXT) | instid1(VALU_DEP_4)
	v_add_co_u32 v8, vcc_lo, v6, s28
	v_add_co_ci_u32_e32 v9, vcc_lo, s29, v7, vcc_lo
	s_delay_alu instid0(VALU_DEP_4) | instskip(NEXT) | instid1(VALU_DEP_4)
	v_add_co_u32 v10, vcc_lo, v4, s30
	v_add_co_ci_u32_e32 v11, vcc_lo, s31, v5, vcc_lo
	global_load_b64 v[12:13], v[8:9], off
	global_load_b64 v[14:15], v[10:11], off
	v_add_co_u32 v8, vcc_lo, v8, s28
	v_add_co_ci_u32_e32 v9, vcc_lo, s29, v9, vcc_lo
	v_add_co_u32 v10, vcc_lo, v10, s38
	v_add_co_ci_u32_e32 v11, vcc_lo, s39, v11, vcc_lo
	global_load_b64 v[6:7], v[6:7], off
	global_load_b64 v[4:5], v[4:5], off
	;; [unrolled: 1-line block ×4, first 2 shown]
	v_add_co_u32 v2, vcc_lo, v2, s33
	v_add_co_ci_u32_e32 v3, vcc_lo, 0, v3, vcc_lo
	v_add_co_u32 v16, vcc_lo, s12, v16
	v_add_co_ci_u32_e32 v17, vcc_lo, s13, v17, vcc_lo
	s_delay_alu instid0(VALU_DEP_3) | instskip(NEXT) | instid1(VALU_DEP_3)
	v_cmp_le_i64_e32 vcc_lo, s[2:3], v[2:3]
	v_add_co_u32 v18, s0, v16, s20
	s_delay_alu instid0(VALU_DEP_1)
	v_add_co_ci_u32_e64 v19, s0, s21, v17, s0
	s_or_b32 s11, vcc_lo, s11
	s_waitcnt vmcnt(4)
	v_mul_lo_u32 v0, v15, v12
	v_mul_lo_u32 v28, v14, v13
	v_mad_u64_u32 v[20:21], null, v14, v12, 0
	s_waitcnt vmcnt(2)
	v_mul_lo_u32 v30, v5, v12
	v_mul_lo_u32 v29, v7, v14
	v_mad_u64_u32 v[22:23], null, v6, v14, 0
	v_mul_lo_u32 v31, v4, v13
	v_mad_u64_u32 v[13:14], null, v4, v12, 0
	s_waitcnt vmcnt(0)
	v_mul_lo_u32 v12, v11, v8
	v_mul_lo_u32 v32, v10, v9
	v_mad_u64_u32 v[24:25], null, v10, v8, 0
	v_mul_lo_u32 v15, v6, v15
	v_mul_lo_u32 v33, v5, v8
	;; [unrolled: 1-line block ×3, first 2 shown]
	v_mad_u64_u32 v[26:27], null, v4, v8, 0
	v_mul_lo_u32 v8, v7, v10
	v_mul_lo_u32 v11, v6, v11
	v_mad_u64_u32 v[4:5], null, v6, v10, 0
	v_add_co_u32 v6, s0, v18, s20
	v_add3_u32 v0, v21, v28, v0
	v_add3_u32 v10, v25, v32, v12
	v_add_co_ci_u32_e64 v7, s0, s21, v19, s0
	v_add3_u32 v15, v23, v15, v29
	v_add3_u32 v12, v27, v9, v33
	;; [unrolled: 1-line block ×3, first 2 shown]
	v_sub_co_u32 v8, s0, v20, v24
	s_delay_alu instid0(VALU_DEP_1) | instskip(SKIP_2) | instid1(VALU_DEP_1)
	v_sub_co_ci_u32_e64 v9, s0, v0, v10, s0
	v_add3_u32 v14, v14, v31, v30
	v_sub_co_u32 v10, s0, v26, v22
	v_sub_co_ci_u32_e64 v11, s0, v12, v15, s0
	v_sub_co_u32 v4, s0, v4, v13
	s_delay_alu instid0(VALU_DEP_1)
	v_sub_co_ci_u32_e64 v5, s0, v5, v14, s0
	s_clause 0x2
	global_store_b64 v[16:17], v[8:9], off
	global_store_b64 v[18:19], v[10:11], off
	;; [unrolled: 1-line block ×3, first 2 shown]
	s_and_not1_b32 exec_lo, exec_lo, s11
	s_cbranch_execz .LBB7_13
.LBB7_3:                                ; =>This Loop Header: Depth=1
                                        ;     Child Loop BB7_6 Depth 2
	s_and_not1_b32 vcc_lo, exec_lo, s34
	s_cbranch_vccnz .LBB7_9
; %bb.4:                                ;   in Loop: Header=BB7_3 Depth=1
	v_mov_b32_e32 v0, 0
	v_mov_b32_e32 v6, 0
	;; [unrolled: 1-line block ×3, first 2 shown]
	s_and_not1_b32 vcc_lo, exec_lo, s35
	s_mov_b32 s40, 0
	s_cbranch_vccnz .LBB7_10
; %bb.5:                                ;   in Loop: Header=BB7_3 Depth=1
	v_dual_mov_b32 v4, 0 :: v_dual_mov_b32 v5, v2
	v_mov_b32_e32 v6, 0
	s_mov_b32 s41, s36
	s_mov_b64 s[0:1], s[22:23]
	s_delay_alu instid0(VALU_DEP_2)
	v_mov_b32_e32 v0, v4
	s_set_inst_prefetch_distance 0x1
	.p2align	6
.LBB7_6:                                ;   Parent Loop BB7_3 Depth=1
                                        ; =>  This Inner Loop Header: Depth=2
	s_clause 0x2
	s_load_b128 s[44:47], s[0:1], 0x18
	s_load_b64 s[42:43], s[0:1], 0x28
	s_load_b128 s[48:51], s[0:1], 0xd8
	s_waitcnt lgkmcnt(0)
	v_mul_hi_u32 v7, s45, v5
	s_delay_alu instid0(VALU_DEP_1) | instskip(NEXT) | instid1(VALU_DEP_1)
	v_add_nc_u32_e32 v7, v5, v7
	v_lshrrev_b32_e32 v7, s46, v7
	s_delay_alu instid0(VALU_DEP_1)
	v_mul_hi_u32 v8, s42, v7
	v_mul_lo_u32 v9, v7, s44
	s_load_b64 s[44:45], s[0:1], 0xe8
	s_add_u32 s0, s0, 24
	s_addc_u32 s1, s1, 0
	s_add_i32 s41, s41, -2
	s_delay_alu instid0(SALU_CYCLE_1) | instskip(NEXT) | instid1(VALU_DEP_2)
	s_cmp_lg_u32 s41, 0
	v_add_nc_u32_e32 v8, v7, v8
	s_delay_alu instid0(VALU_DEP_2) | instskip(NEXT) | instid1(VALU_DEP_2)
	v_sub_nc_u32_e32 v9, v5, v9
	v_lshrrev_b32_e32 v5, s43, v8
	s_delay_alu instid0(VALU_DEP_2) | instskip(NEXT) | instid1(VALU_DEP_2)
	v_mul_lo_u32 v10, v9, s48
	v_mul_lo_u32 v8, v5, s47
	s_delay_alu instid0(VALU_DEP_1) | instskip(SKIP_2) | instid1(VALU_DEP_3)
	v_sub_nc_u32_e32 v7, v7, v8
	v_mul_lo_u32 v8, v9, s49
	v_mul_lo_u32 v9, v9, s50
	;; [unrolled: 1-line block ×3, first 2 shown]
	s_waitcnt lgkmcnt(0)
	v_mul_lo_u32 v12, v7, s44
	v_mul_lo_u32 v7, v7, s45
	s_delay_alu instid0(VALU_DEP_3) | instskip(NEXT) | instid1(VALU_DEP_3)
	v_add3_u32 v0, v10, v0, v11
	v_add3_u32 v6, v8, v6, v12
	s_delay_alu instid0(VALU_DEP_3)
	v_add3_u32 v4, v9, v4, v7
	s_cbranch_scc1 .LBB7_6
; %bb.7:                                ;   in Loop: Header=BB7_3 Depth=1
	s_set_inst_prefetch_distance 0x2
	s_and_not1_b32 vcc_lo, exec_lo, s37
	s_cbranch_vccnz .LBB7_10
; %bb.8:                                ;   in Loop: Header=BB7_3 Depth=1
	s_clause 0x3
	s_load_b64 s[42:43], s[0:1], 0x18
	s_load_b32 s41, s[0:1], 0x20
	s_load_b64 s[44:45], s[0:1], 0xd8
	s_load_b32 s0, s[0:1], 0xe0
	s_waitcnt lgkmcnt(0)
	v_mul_hi_u32 v7, s43, v5
	s_delay_alu instid0(VALU_DEP_1) | instskip(NEXT) | instid1(VALU_DEP_1)
	v_add_nc_u32_e32 v7, v5, v7
	v_lshrrev_b32_e32 v7, s41, v7
	s_delay_alu instid0(VALU_DEP_1) | instskip(NEXT) | instid1(VALU_DEP_1)
	v_mul_lo_u32 v7, v7, s42
	v_sub_nc_u32_e32 v10, v5, v7
	s_delay_alu instid0(VALU_DEP_1) | instskip(NEXT) | instid1(VALU_DEP_1)
	v_mad_u64_u32 v[7:8], null, v10, s44, v[0:1]
	v_mad_u64_u32 v[8:9], null, v10, s45, v[6:7]
	;; [unrolled: 1-line block ×3, first 2 shown]
	v_mov_b32_e32 v0, v7
	s_delay_alu instid0(VALU_DEP_3) | instskip(NEXT) | instid1(VALU_DEP_3)
	v_mov_b32_e32 v6, v8
	v_mov_b32_e32 v4, v5
	s_branch .LBB7_10
.LBB7_9:                                ;   in Loop: Header=BB7_3 Depth=1
	s_mov_b32 s40, -1
                                        ; implicit-def: $vgpr6
                                        ; implicit-def: $vgpr4
.LBB7_10:                               ;   in Loop: Header=BB7_3 Depth=1
	s_delay_alu instid0(SALU_CYCLE_1)
	s_and_not1_b32 vcc_lo, exec_lo, s40
	s_cbranch_vccnz .LBB7_2
; %bb.11:                               ;   in Loop: Header=BB7_3 Depth=1
	v_mul_hi_u32 v0, v2, s6
	s_and_not1_b32 vcc_lo, exec_lo, s4
	s_delay_alu instid0(VALU_DEP_1) | instskip(NEXT) | instid1(VALU_DEP_1)
	v_add_nc_u32_e32 v0, v0, v2
	v_lshrrev_b32_e32 v5, s7, v0
	s_delay_alu instid0(VALU_DEP_1) | instskip(NEXT) | instid1(VALU_DEP_1)
	v_mul_lo_u32 v0, v5, s5
	v_sub_nc_u32_e32 v4, v2, v0
	s_delay_alu instid0(VALU_DEP_1)
	v_mul_lo_u32 v0, v4, s16
	v_mul_lo_u32 v6, v4, s17
	;; [unrolled: 1-line block ×3, first 2 shown]
	s_cbranch_vccnz .LBB7_2
; %bb.12:                               ;   in Loop: Header=BB7_3 Depth=1
	v_mul_hi_u32 v7, s9, v5
	s_delay_alu instid0(VALU_DEP_1) | instskip(NEXT) | instid1(VALU_DEP_1)
	v_add_nc_u32_e32 v7, v5, v7
	v_lshrrev_b32_e32 v7, s10, v7
	s_delay_alu instid0(VALU_DEP_1) | instskip(NEXT) | instid1(VALU_DEP_1)
	v_mul_lo_u32 v7, v7, s8
	v_sub_nc_u32_e32 v10, v5, v7
	s_delay_alu instid0(VALU_DEP_1) | instskip(NEXT) | instid1(VALU_DEP_1)
	v_mad_u64_u32 v[7:8], null, v10, s19, v[0:1]
	v_mad_u64_u32 v[8:9], null, v10, s26, v[6:7]
	;; [unrolled: 1-line block ×3, first 2 shown]
	v_mov_b32_e32 v0, v7
	s_delay_alu instid0(VALU_DEP_3) | instskip(NEXT) | instid1(VALU_DEP_3)
	v_mov_b32_e32 v6, v8
	v_mov_b32_e32 v4, v5
	s_branch .LBB7_2
.LBB7_13:
	s_nop 0
	s_sendmsg sendmsg(MSG_DEALLOC_VGPRS)
	s_endpgm
	.section	.rodata,"a",@progbits
	.p2align	6, 0x0
	.amdhsa_kernel _ZN2at6native12cross_kernelIl16OffsetCalculatorILi3EjLb0EEiEEviPT_PKS4_S7_T0_T1_S9_S9_
		.amdhsa_group_segment_fixed_size 0
		.amdhsa_private_segment_fixed_size 0
		.amdhsa_kernarg_size 688
		.amdhsa_user_sgpr_count 15
		.amdhsa_user_sgpr_dispatch_ptr 0
		.amdhsa_user_sgpr_queue_ptr 0
		.amdhsa_user_sgpr_kernarg_segment_ptr 1
		.amdhsa_user_sgpr_dispatch_id 0
		.amdhsa_user_sgpr_private_segment_size 0
		.amdhsa_wavefront_size32 1
		.amdhsa_uses_dynamic_stack 0
		.amdhsa_enable_private_segment 0
		.amdhsa_system_sgpr_workgroup_id_x 1
		.amdhsa_system_sgpr_workgroup_id_y 0
		.amdhsa_system_sgpr_workgroup_id_z 0
		.amdhsa_system_sgpr_workgroup_info 0
		.amdhsa_system_vgpr_workitem_id 0
		.amdhsa_next_free_vgpr 34
		.amdhsa_next_free_sgpr 52
		.amdhsa_reserve_vcc 1
		.amdhsa_float_round_mode_32 0
		.amdhsa_float_round_mode_16_64 0
		.amdhsa_float_denorm_mode_32 3
		.amdhsa_float_denorm_mode_16_64 3
		.amdhsa_dx10_clamp 1
		.amdhsa_ieee_mode 1
		.amdhsa_fp16_overflow 0
		.amdhsa_workgroup_processor_mode 1
		.amdhsa_memory_ordered 1
		.amdhsa_forward_progress 0
		.amdhsa_shared_vgpr_count 0
		.amdhsa_exception_fp_ieee_invalid_op 0
		.amdhsa_exception_fp_denorm_src 0
		.amdhsa_exception_fp_ieee_div_zero 0
		.amdhsa_exception_fp_ieee_overflow 0
		.amdhsa_exception_fp_ieee_underflow 0
		.amdhsa_exception_fp_ieee_inexact 0
		.amdhsa_exception_int_div_zero 0
	.end_amdhsa_kernel
	.section	.text._ZN2at6native12cross_kernelIl16OffsetCalculatorILi3EjLb0EEiEEviPT_PKS4_S7_T0_T1_S9_S9_,"axG",@progbits,_ZN2at6native12cross_kernelIl16OffsetCalculatorILi3EjLb0EEiEEviPT_PKS4_S7_T0_T1_S9_S9_,comdat
.Lfunc_end7:
	.size	_ZN2at6native12cross_kernelIl16OffsetCalculatorILi3EjLb0EEiEEviPT_PKS4_S7_T0_T1_S9_S9_, .Lfunc_end7-_ZN2at6native12cross_kernelIl16OffsetCalculatorILi3EjLb0EEiEEviPT_PKS4_S7_T0_T1_S9_S9_
                                        ; -- End function
	.section	.AMDGPU.csdata,"",@progbits
; Kernel info:
; codeLenInByte = 1420
; NumSgprs: 54
; NumVgprs: 34
; ScratchSize: 0
; MemoryBound: 0
; FloatMode: 240
; IeeeMode: 1
; LDSByteSize: 0 bytes/workgroup (compile time only)
; SGPRBlocks: 6
; VGPRBlocks: 4
; NumSGPRsForWavesPerEU: 54
; NumVGPRsForWavesPerEU: 34
; Occupancy: 16
; WaveLimiterHint : 1
; COMPUTE_PGM_RSRC2:SCRATCH_EN: 0
; COMPUTE_PGM_RSRC2:USER_SGPR: 15
; COMPUTE_PGM_RSRC2:TRAP_HANDLER: 0
; COMPUTE_PGM_RSRC2:TGID_X_EN: 1
; COMPUTE_PGM_RSRC2:TGID_Y_EN: 0
; COMPUTE_PGM_RSRC2:TGID_Z_EN: 0
; COMPUTE_PGM_RSRC2:TIDIG_COMP_CNT: 0
	.section	.text._ZN2at6native12cross_kernelIs16OffsetCalculatorILi3EjLb0EElEEviPT_PKS4_S7_T0_T1_S9_S9_,"axG",@progbits,_ZN2at6native12cross_kernelIs16OffsetCalculatorILi3EjLb0EElEEviPT_PKS4_S7_T0_T1_S9_S9_,comdat
	.protected	_ZN2at6native12cross_kernelIs16OffsetCalculatorILi3EjLb0EElEEviPT_PKS4_S7_T0_T1_S9_S9_ ; -- Begin function _ZN2at6native12cross_kernelIs16OffsetCalculatorILi3EjLb0EElEEviPT_PKS4_S7_T0_T1_S9_S9_
	.globl	_ZN2at6native12cross_kernelIs16OffsetCalculatorILi3EjLb0EElEEviPT_PKS4_S7_T0_T1_S9_S9_
	.p2align	8
	.type	_ZN2at6native12cross_kernelIs16OffsetCalculatorILi3EjLb0EElEEviPT_PKS4_S7_T0_T1_S9_S9_,@function
_ZN2at6native12cross_kernelIs16OffsetCalculatorILi3EjLb0EElEEviPT_PKS4_S7_T0_T1_S9_S9_: ; @_ZN2at6native12cross_kernelIs16OffsetCalculatorILi3EjLb0EElEEviPT_PKS4_S7_T0_T1_S9_S9_
; %bb.0:
	s_clause 0x1
	s_load_b32 s2, s[0:1], 0x0
	s_load_b32 s4, s[0:1], 0x1cc
	v_mov_b32_e32 v1, 0
	s_waitcnt lgkmcnt(0)
	s_ashr_i32 s3, s2, 31
	s_add_u32 s12, s0, 0x1c0
	s_addc_u32 s13, s1, 0
	s_and_b32 s28, s4, 0xffff
	s_mov_b32 s4, exec_lo
	v_mad_u64_u32 v[2:3], null, s28, s15, v[0:1]
	s_delay_alu instid0(VALU_DEP_1)
	v_cmpx_gt_i64_e64 s[2:3], v[2:3]
	s_cbranch_execz .LBB8_13
; %bb.1:
	s_load_b256 s[4:11], s[0:1], 0x20
	s_load_b32 s29, s[12:13], 0x0
	s_clause 0x5
	s_load_b64 s[30:31], s[0:1], 0x1b8
	s_load_b128 s[12:15], s[0:1], 0x8
	s_load_b64 s[24:25], s[0:1], 0x18
	s_load_b128 s[20:23], s[0:1], 0x1a8
	s_load_b128 s[16:19], s[0:1], 0xe4
	s_load_b64 s[26:27], s[0:1], 0xf4
	s_waitcnt lgkmcnt(0)
	s_mov_b32 s11, 0
	s_add_i32 s36, s4, -1
	s_mul_i32 s33, s29, s28
	s_cmp_gt_u32 s36, 1
	s_cselect_b32 s34, -1, 0
	s_cmp_lg_u32 s4, 0
	s_cselect_b32 s35, -1, 0
	s_min_u32 s37, s36, 15
	s_cmp_gt_u32 s4, 1
	s_cselect_b32 s4, -1, 0
	s_add_i32 s36, s37, 1
	s_lshl_b64 s[28:29], s[30:31], 2
	s_and_b32 s36, s36, 30
	s_bitcmp0_b32 s37, 0
	s_cselect_b32 s37, -1, 0
	s_lshl_b64 s[30:31], s[30:31], 1
	s_lshl_b64 s[22:23], s[22:23], 1
	s_sub_u32 s38, 0, s30
	s_subb_u32 s39, 0, s31
	s_lshl_b64 s[20:21], s[20:21], 1
	s_add_u32 s30, s0, 12
	s_addc_u32 s31, s1, 0
	s_branch .LBB8_3
.LBB8_2:                                ;   in Loop: Header=BB8_3 Depth=1
	v_mov_b32_e32 v7, v1
	v_mov_b32_e32 v5, v1
	s_delay_alu instid0(VALU_DEP_2) | instskip(NEXT) | instid1(VALU_DEP_2)
	v_lshlrev_b64 v[6:7], 1, v[6:7]
	v_lshlrev_b64 v[4:5], 1, v[4:5]
	s_delay_alu instid0(VALU_DEP_2) | instskip(NEXT) | instid1(VALU_DEP_3)
	v_add_co_u32 v6, vcc_lo, s14, v6
	v_add_co_ci_u32_e32 v7, vcc_lo, s15, v7, vcc_lo
	s_delay_alu instid0(VALU_DEP_3) | instskip(NEXT) | instid1(VALU_DEP_4)
	v_add_co_u32 v4, vcc_lo, s24, v4
	v_add_co_ci_u32_e32 v5, vcc_lo, s25, v5, vcc_lo
	s_delay_alu instid0(VALU_DEP_4) | instskip(NEXT) | instid1(VALU_DEP_4)
	v_add_co_u32 v8, vcc_lo, v6, s22
	v_add_co_ci_u32_e32 v9, vcc_lo, s23, v7, vcc_lo
	s_delay_alu instid0(VALU_DEP_4) | instskip(NEXT) | instid1(VALU_DEP_4)
	v_add_co_u32 v10, vcc_lo, v4, s28
	v_add_co_ci_u32_e32 v11, vcc_lo, s29, v5, vcc_lo
	global_load_u16 v14, v[8:9], off
	v_add_co_u32 v8, vcc_lo, v8, s22
	v_add_co_ci_u32_e32 v9, vcc_lo, s23, v9, vcc_lo
	v_add_co_u32 v12, vcc_lo, v10, s38
	v_add_co_ci_u32_e32 v13, vcc_lo, s39, v11, vcc_lo
	global_load_u16 v10, v[10:11], off
	s_clause 0x1
	global_load_u16 v8, v[8:9], off
	global_load_u16 v9, v[6:7], off
	s_clause 0x1
	global_load_u16 v11, v[4:5], off
	global_load_u16 v12, v[12:13], off
	v_lshlrev_b64 v[4:5], 1, v[0:1]
	v_add_co_u32 v2, vcc_lo, v2, s33
	v_add_co_ci_u32_e32 v3, vcc_lo, 0, v3, vcc_lo
	s_delay_alu instid0(VALU_DEP_3) | instskip(NEXT) | instid1(VALU_DEP_4)
	v_add_co_u32 v4, vcc_lo, s12, v4
	v_add_co_ci_u32_e32 v5, vcc_lo, s13, v5, vcc_lo
	s_delay_alu instid0(VALU_DEP_3) | instskip(NEXT) | instid1(VALU_DEP_3)
	v_cmp_le_i64_e32 vcc_lo, s[2:3], v[2:3]
	v_add_co_u32 v6, s0, v4, s20
	s_delay_alu instid0(VALU_DEP_1)
	v_add_co_ci_u32_e64 v7, s0, s21, v5, s0
	s_or_b32 s11, vcc_lo, s11
	s_waitcnt vmcnt(4)
	v_mul_lo_u16 v0, v10, v14
	s_waitcnt vmcnt(2)
	v_mul_lo_u16 v10, v9, v10
	;; [unrolled: 2-line block ×4, first 2 shown]
	v_mul_lo_u16 v11, v11, v8
	v_mul_lo_u16 v12, v9, v12
	v_add_co_u32 v8, s0, v6, s20
	s_delay_alu instid0(VALU_DEP_4) | instskip(NEXT) | instid1(VALU_DEP_4)
	v_sub_nc_u16 v0, v0, v14
	v_sub_nc_u16 v10, v11, v10
	v_add_co_ci_u32_e64 v9, s0, s21, v7, s0
	v_sub_nc_u16 v11, v12, v13
	s_clause 0x2
	global_store_b16 v[4:5], v0, off
	global_store_b16 v[6:7], v10, off
	;; [unrolled: 1-line block ×3, first 2 shown]
	s_and_not1_b32 exec_lo, exec_lo, s11
	s_cbranch_execz .LBB8_13
.LBB8_3:                                ; =>This Loop Header: Depth=1
                                        ;     Child Loop BB8_6 Depth 2
	s_and_not1_b32 vcc_lo, exec_lo, s34
	s_cbranch_vccnz .LBB8_9
; %bb.4:                                ;   in Loop: Header=BB8_3 Depth=1
	v_mov_b32_e32 v0, 0
	v_mov_b32_e32 v6, 0
	;; [unrolled: 1-line block ×3, first 2 shown]
	s_and_not1_b32 vcc_lo, exec_lo, s35
	s_mov_b32 s40, 0
	s_cbranch_vccnz .LBB8_10
; %bb.5:                                ;   in Loop: Header=BB8_3 Depth=1
	v_dual_mov_b32 v4, 0 :: v_dual_mov_b32 v5, v2
	v_mov_b32_e32 v6, 0
	s_mov_b32 s41, s36
	s_mov_b64 s[0:1], s[30:31]
	s_delay_alu instid0(VALU_DEP_2)
	v_mov_b32_e32 v0, v4
	s_set_inst_prefetch_distance 0x1
	.p2align	6
.LBB8_6:                                ;   Parent Loop BB8_3 Depth=1
                                        ; =>  This Inner Loop Header: Depth=2
	s_clause 0x2
	s_load_b128 s[44:47], s[0:1], 0x18
	s_load_b64 s[42:43], s[0:1], 0x28
	s_load_b128 s[48:51], s[0:1], 0xd8
	s_waitcnt lgkmcnt(0)
	v_mul_hi_u32 v7, s45, v5
	s_delay_alu instid0(VALU_DEP_1) | instskip(NEXT) | instid1(VALU_DEP_1)
	v_add_nc_u32_e32 v7, v5, v7
	v_lshrrev_b32_e32 v7, s46, v7
	s_delay_alu instid0(VALU_DEP_1)
	v_mul_hi_u32 v8, s42, v7
	v_mul_lo_u32 v9, v7, s44
	s_load_b64 s[44:45], s[0:1], 0xe8
	s_add_u32 s0, s0, 24
	s_addc_u32 s1, s1, 0
	s_add_i32 s41, s41, -2
	s_delay_alu instid0(SALU_CYCLE_1) | instskip(NEXT) | instid1(VALU_DEP_2)
	s_cmp_lg_u32 s41, 0
	v_add_nc_u32_e32 v8, v7, v8
	s_delay_alu instid0(VALU_DEP_2) | instskip(NEXT) | instid1(VALU_DEP_2)
	v_sub_nc_u32_e32 v9, v5, v9
	v_lshrrev_b32_e32 v5, s43, v8
	s_delay_alu instid0(VALU_DEP_2) | instskip(NEXT) | instid1(VALU_DEP_2)
	v_mul_lo_u32 v10, v9, s48
	v_mul_lo_u32 v8, v5, s47
	s_delay_alu instid0(VALU_DEP_1) | instskip(SKIP_2) | instid1(VALU_DEP_3)
	v_sub_nc_u32_e32 v7, v7, v8
	v_mul_lo_u32 v8, v9, s49
	v_mul_lo_u32 v9, v9, s50
	;; [unrolled: 1-line block ×3, first 2 shown]
	s_waitcnt lgkmcnt(0)
	v_mul_lo_u32 v12, v7, s44
	v_mul_lo_u32 v7, v7, s45
	s_delay_alu instid0(VALU_DEP_3) | instskip(NEXT) | instid1(VALU_DEP_3)
	v_add3_u32 v0, v10, v0, v11
	v_add3_u32 v6, v8, v6, v12
	s_delay_alu instid0(VALU_DEP_3)
	v_add3_u32 v4, v9, v4, v7
	s_cbranch_scc1 .LBB8_6
; %bb.7:                                ;   in Loop: Header=BB8_3 Depth=1
	s_set_inst_prefetch_distance 0x2
	s_and_not1_b32 vcc_lo, exec_lo, s37
	s_cbranch_vccnz .LBB8_10
; %bb.8:                                ;   in Loop: Header=BB8_3 Depth=1
	s_clause 0x3
	s_load_b64 s[42:43], s[0:1], 0x18
	s_load_b32 s41, s[0:1], 0x20
	s_load_b64 s[44:45], s[0:1], 0xd8
	s_load_b32 s0, s[0:1], 0xe0
	s_waitcnt lgkmcnt(0)
	v_mul_hi_u32 v7, s43, v5
	s_delay_alu instid0(VALU_DEP_1) | instskip(NEXT) | instid1(VALU_DEP_1)
	v_add_nc_u32_e32 v7, v5, v7
	v_lshrrev_b32_e32 v7, s41, v7
	s_delay_alu instid0(VALU_DEP_1) | instskip(NEXT) | instid1(VALU_DEP_1)
	v_mul_lo_u32 v7, v7, s42
	v_sub_nc_u32_e32 v10, v5, v7
	s_delay_alu instid0(VALU_DEP_1) | instskip(NEXT) | instid1(VALU_DEP_1)
	v_mad_u64_u32 v[7:8], null, v10, s44, v[0:1]
	v_mad_u64_u32 v[8:9], null, v10, s45, v[6:7]
	;; [unrolled: 1-line block ×3, first 2 shown]
	v_mov_b32_e32 v0, v7
	s_delay_alu instid0(VALU_DEP_3) | instskip(NEXT) | instid1(VALU_DEP_3)
	v_mov_b32_e32 v6, v8
	v_mov_b32_e32 v4, v5
	s_branch .LBB8_10
.LBB8_9:                                ;   in Loop: Header=BB8_3 Depth=1
	s_mov_b32 s40, -1
                                        ; implicit-def: $vgpr6
                                        ; implicit-def: $vgpr4
.LBB8_10:                               ;   in Loop: Header=BB8_3 Depth=1
	s_delay_alu instid0(SALU_CYCLE_1)
	s_and_not1_b32 vcc_lo, exec_lo, s40
	s_cbranch_vccnz .LBB8_2
; %bb.11:                               ;   in Loop: Header=BB8_3 Depth=1
	v_mul_hi_u32 v0, v2, s6
	s_and_not1_b32 vcc_lo, exec_lo, s4
	s_delay_alu instid0(VALU_DEP_1) | instskip(NEXT) | instid1(VALU_DEP_1)
	v_add_nc_u32_e32 v0, v0, v2
	v_lshrrev_b32_e32 v5, s7, v0
	s_delay_alu instid0(VALU_DEP_1) | instskip(NEXT) | instid1(VALU_DEP_1)
	v_mul_lo_u32 v0, v5, s5
	v_sub_nc_u32_e32 v4, v2, v0
	s_delay_alu instid0(VALU_DEP_1)
	v_mul_lo_u32 v0, v4, s16
	v_mul_lo_u32 v6, v4, s17
	;; [unrolled: 1-line block ×3, first 2 shown]
	s_cbranch_vccnz .LBB8_2
; %bb.12:                               ;   in Loop: Header=BB8_3 Depth=1
	v_mul_hi_u32 v7, s9, v5
	s_delay_alu instid0(VALU_DEP_1) | instskip(NEXT) | instid1(VALU_DEP_1)
	v_add_nc_u32_e32 v7, v5, v7
	v_lshrrev_b32_e32 v7, s10, v7
	s_delay_alu instid0(VALU_DEP_1) | instskip(NEXT) | instid1(VALU_DEP_1)
	v_mul_lo_u32 v7, v7, s8
	v_sub_nc_u32_e32 v10, v5, v7
	s_delay_alu instid0(VALU_DEP_1) | instskip(NEXT) | instid1(VALU_DEP_1)
	v_mad_u64_u32 v[7:8], null, v10, s19, v[0:1]
	v_mad_u64_u32 v[8:9], null, v10, s26, v[6:7]
	v_mad_u64_u32 v[5:6], null, v10, s27, v[4:5]
	v_mov_b32_e32 v0, v7
	s_delay_alu instid0(VALU_DEP_3) | instskip(NEXT) | instid1(VALU_DEP_3)
	v_mov_b32_e32 v6, v8
	v_mov_b32_e32 v4, v5
	s_branch .LBB8_2
.LBB8_13:
	s_nop 0
	s_sendmsg sendmsg(MSG_DEALLOC_VGPRS)
	s_endpgm
	.section	.rodata,"a",@progbits
	.p2align	6, 0x0
	.amdhsa_kernel _ZN2at6native12cross_kernelIs16OffsetCalculatorILi3EjLb0EElEEviPT_PKS4_S7_T0_T1_S9_S9_
		.amdhsa_group_segment_fixed_size 0
		.amdhsa_private_segment_fixed_size 0
		.amdhsa_kernarg_size 704
		.amdhsa_user_sgpr_count 15
		.amdhsa_user_sgpr_dispatch_ptr 0
		.amdhsa_user_sgpr_queue_ptr 0
		.amdhsa_user_sgpr_kernarg_segment_ptr 1
		.amdhsa_user_sgpr_dispatch_id 0
		.amdhsa_user_sgpr_private_segment_size 0
		.amdhsa_wavefront_size32 1
		.amdhsa_uses_dynamic_stack 0
		.amdhsa_enable_private_segment 0
		.amdhsa_system_sgpr_workgroup_id_x 1
		.amdhsa_system_sgpr_workgroup_id_y 0
		.amdhsa_system_sgpr_workgroup_id_z 0
		.amdhsa_system_sgpr_workgroup_info 0
		.amdhsa_system_vgpr_workitem_id 0
		.amdhsa_next_free_vgpr 15
		.amdhsa_next_free_sgpr 52
		.amdhsa_reserve_vcc 1
		.amdhsa_float_round_mode_32 0
		.amdhsa_float_round_mode_16_64 0
		.amdhsa_float_denorm_mode_32 3
		.amdhsa_float_denorm_mode_16_64 3
		.amdhsa_dx10_clamp 1
		.amdhsa_ieee_mode 1
		.amdhsa_fp16_overflow 0
		.amdhsa_workgroup_processor_mode 1
		.amdhsa_memory_ordered 1
		.amdhsa_forward_progress 0
		.amdhsa_shared_vgpr_count 0
		.amdhsa_exception_fp_ieee_invalid_op 0
		.amdhsa_exception_fp_denorm_src 0
		.amdhsa_exception_fp_ieee_div_zero 0
		.amdhsa_exception_fp_ieee_overflow 0
		.amdhsa_exception_fp_ieee_underflow 0
		.amdhsa_exception_fp_ieee_inexact 0
		.amdhsa_exception_int_div_zero 0
	.end_amdhsa_kernel
	.section	.text._ZN2at6native12cross_kernelIs16OffsetCalculatorILi3EjLb0EElEEviPT_PKS4_S7_T0_T1_S9_S9_,"axG",@progbits,_ZN2at6native12cross_kernelIs16OffsetCalculatorILi3EjLb0EElEEviPT_PKS4_S7_T0_T1_S9_S9_,comdat
.Lfunc_end8:
	.size	_ZN2at6native12cross_kernelIs16OffsetCalculatorILi3EjLb0EElEEviPT_PKS4_S7_T0_T1_S9_S9_, .Lfunc_end8-_ZN2at6native12cross_kernelIs16OffsetCalculatorILi3EjLb0EElEEviPT_PKS4_S7_T0_T1_S9_S9_
                                        ; -- End function
	.section	.AMDGPU.csdata,"",@progbits
; Kernel info:
; codeLenInByte = 1236
; NumSgprs: 54
; NumVgprs: 15
; ScratchSize: 0
; MemoryBound: 0
; FloatMode: 240
; IeeeMode: 1
; LDSByteSize: 0 bytes/workgroup (compile time only)
; SGPRBlocks: 6
; VGPRBlocks: 1
; NumSGPRsForWavesPerEU: 54
; NumVGPRsForWavesPerEU: 15
; Occupancy: 16
; WaveLimiterHint : 1
; COMPUTE_PGM_RSRC2:SCRATCH_EN: 0
; COMPUTE_PGM_RSRC2:USER_SGPR: 15
; COMPUTE_PGM_RSRC2:TRAP_HANDLER: 0
; COMPUTE_PGM_RSRC2:TGID_X_EN: 1
; COMPUTE_PGM_RSRC2:TGID_Y_EN: 0
; COMPUTE_PGM_RSRC2:TGID_Z_EN: 0
; COMPUTE_PGM_RSRC2:TIDIG_COMP_CNT: 0
	.section	.text._ZN2at6native12cross_kernelIs16OffsetCalculatorILi3EjLb0EEiEEviPT_PKS4_S7_T0_T1_S9_S9_,"axG",@progbits,_ZN2at6native12cross_kernelIs16OffsetCalculatorILi3EjLb0EEiEEviPT_PKS4_S7_T0_T1_S9_S9_,comdat
	.protected	_ZN2at6native12cross_kernelIs16OffsetCalculatorILi3EjLb0EEiEEviPT_PKS4_S7_T0_T1_S9_S9_ ; -- Begin function _ZN2at6native12cross_kernelIs16OffsetCalculatorILi3EjLb0EEiEEviPT_PKS4_S7_T0_T1_S9_S9_
	.globl	_ZN2at6native12cross_kernelIs16OffsetCalculatorILi3EjLb0EEiEEviPT_PKS4_S7_T0_T1_S9_S9_
	.p2align	8
	.type	_ZN2at6native12cross_kernelIs16OffsetCalculatorILi3EjLb0EEiEEviPT_PKS4_S7_T0_T1_S9_S9_,@function
_ZN2at6native12cross_kernelIs16OffsetCalculatorILi3EjLb0EEiEEviPT_PKS4_S7_T0_T1_S9_S9_: ; @_ZN2at6native12cross_kernelIs16OffsetCalculatorILi3EjLb0EEiEEviPT_PKS4_S7_T0_T1_S9_S9_
; %bb.0:
	s_clause 0x1
	s_load_b32 s2, s[0:1], 0x0
	s_load_b32 s4, s[0:1], 0x1bc
	v_mov_b32_e32 v1, 0
	s_waitcnt lgkmcnt(0)
	s_ashr_i32 s3, s2, 31
	s_add_u32 s12, s0, 0x1b0
	s_addc_u32 s13, s1, 0
	s_and_b32 s28, s4, 0xffff
	s_mov_b32 s4, exec_lo
	v_mad_u64_u32 v[2:3], null, s28, s15, v[0:1]
	s_delay_alu instid0(VALU_DEP_1)
	v_cmpx_gt_i64_e64 s[2:3], v[2:3]
	s_cbranch_execz .LBB9_13
; %bb.1:
	s_clause 0x1
	s_load_b256 s[4:11], s[0:1], 0x20
	s_load_b128 s[20:23], s[0:1], 0x1a4
	s_waitcnt lgkmcnt(0)
	s_load_b32 s23, s[12:13], 0x0
	s_clause 0x3
	s_load_b128 s[12:15], s[0:1], 0x8
	s_load_b64 s[24:25], s[0:1], 0x18
	s_load_b128 s[16:19], s[0:1], 0xe4
	s_load_b64 s[26:27], s[0:1], 0xf4
	s_mov_b32 s11, 0
	s_add_i32 s29, s4, -1
	s_waitcnt lgkmcnt(0)
	s_mul_i32 s33, s23, s28
	s_cmp_gt_u32 s29, 1
	s_mov_b32 s30, s21
	s_cselect_b32 s34, -1, 0
	s_cmp_lg_u32 s4, 0
	s_cselect_b32 s35, -1, 0
	s_min_u32 s23, s29, 15
	s_cmp_gt_u32 s4, 1
	s_cselect_b32 s4, -1, 0
	s_lshl_b32 s40, s22, 1
	s_add_i32 s28, s23, 1
	s_ashr_i32 s31, s21, 31
	s_ashr_i32 s21, s20, 31
	;; [unrolled: 1-line block ×3, first 2 shown]
	s_and_b32 s36, s28, 30
	s_bitcmp0_b32 s23, 0
	s_cselect_b32 s37, -1, 0
	s_ashr_i32 s23, s22, 31
	s_lshl_b64 s[28:29], s[30:31], 1
	s_lshl_b64 s[22:23], s[22:23], 1
	s_delay_alu instid0(SALU_CYCLE_1)
	s_sub_u32 s38, 0, s22
	s_subb_u32 s39, 0, s23
	s_lshl_b64 s[20:21], s[20:21], 1
	s_add_u32 s22, s0, 12
	s_addc_u32 s23, s1, 0
	s_lshl_b64 s[30:31], s[40:41], 1
	s_branch .LBB9_3
.LBB9_2:                                ;   in Loop: Header=BB9_3 Depth=1
	v_mov_b32_e32 v7, v1
	v_mov_b32_e32 v5, v1
	s_delay_alu instid0(VALU_DEP_2) | instskip(NEXT) | instid1(VALU_DEP_2)
	v_lshlrev_b64 v[6:7], 1, v[6:7]
	v_lshlrev_b64 v[4:5], 1, v[4:5]
	s_delay_alu instid0(VALU_DEP_2) | instskip(NEXT) | instid1(VALU_DEP_3)
	v_add_co_u32 v6, vcc_lo, s14, v6
	v_add_co_ci_u32_e32 v7, vcc_lo, s15, v7, vcc_lo
	s_delay_alu instid0(VALU_DEP_3) | instskip(NEXT) | instid1(VALU_DEP_4)
	v_add_co_u32 v4, vcc_lo, s24, v4
	v_add_co_ci_u32_e32 v5, vcc_lo, s25, v5, vcc_lo
	s_delay_alu instid0(VALU_DEP_4) | instskip(NEXT) | instid1(VALU_DEP_4)
	v_add_co_u32 v8, vcc_lo, v6, s28
	v_add_co_ci_u32_e32 v9, vcc_lo, s29, v7, vcc_lo
	s_delay_alu instid0(VALU_DEP_4) | instskip(NEXT) | instid1(VALU_DEP_4)
	v_add_co_u32 v10, vcc_lo, v4, s30
	v_add_co_ci_u32_e32 v11, vcc_lo, s31, v5, vcc_lo
	global_load_u16 v14, v[8:9], off
	v_add_co_u32 v8, vcc_lo, v8, s28
	v_add_co_ci_u32_e32 v9, vcc_lo, s29, v9, vcc_lo
	v_add_co_u32 v12, vcc_lo, v10, s38
	v_add_co_ci_u32_e32 v13, vcc_lo, s39, v11, vcc_lo
	global_load_u16 v10, v[10:11], off
	s_clause 0x1
	global_load_u16 v8, v[8:9], off
	global_load_u16 v9, v[6:7], off
	s_clause 0x1
	global_load_u16 v11, v[4:5], off
	global_load_u16 v12, v[12:13], off
	v_lshlrev_b64 v[4:5], 1, v[0:1]
	v_add_co_u32 v2, vcc_lo, v2, s33
	v_add_co_ci_u32_e32 v3, vcc_lo, 0, v3, vcc_lo
	s_delay_alu instid0(VALU_DEP_3) | instskip(NEXT) | instid1(VALU_DEP_4)
	v_add_co_u32 v4, vcc_lo, s12, v4
	v_add_co_ci_u32_e32 v5, vcc_lo, s13, v5, vcc_lo
	s_delay_alu instid0(VALU_DEP_3) | instskip(NEXT) | instid1(VALU_DEP_3)
	v_cmp_le_i64_e32 vcc_lo, s[2:3], v[2:3]
	v_add_co_u32 v6, s0, v4, s20
	s_delay_alu instid0(VALU_DEP_1)
	v_add_co_ci_u32_e64 v7, s0, s21, v5, s0
	s_or_b32 s11, vcc_lo, s11
	s_waitcnt vmcnt(4)
	v_mul_lo_u16 v0, v10, v14
	s_waitcnt vmcnt(2)
	v_mul_lo_u16 v10, v9, v10
	;; [unrolled: 2-line block ×4, first 2 shown]
	v_mul_lo_u16 v11, v11, v8
	v_mul_lo_u16 v12, v9, v12
	v_add_co_u32 v8, s0, v6, s20
	s_delay_alu instid0(VALU_DEP_4) | instskip(NEXT) | instid1(VALU_DEP_4)
	v_sub_nc_u16 v0, v0, v14
	v_sub_nc_u16 v10, v11, v10
	v_add_co_ci_u32_e64 v9, s0, s21, v7, s0
	v_sub_nc_u16 v11, v12, v13
	s_clause 0x2
	global_store_b16 v[4:5], v0, off
	global_store_b16 v[6:7], v10, off
	;; [unrolled: 1-line block ×3, first 2 shown]
	s_and_not1_b32 exec_lo, exec_lo, s11
	s_cbranch_execz .LBB9_13
.LBB9_3:                                ; =>This Loop Header: Depth=1
                                        ;     Child Loop BB9_6 Depth 2
	s_and_not1_b32 vcc_lo, exec_lo, s34
	s_cbranch_vccnz .LBB9_9
; %bb.4:                                ;   in Loop: Header=BB9_3 Depth=1
	v_mov_b32_e32 v0, 0
	v_mov_b32_e32 v6, 0
	;; [unrolled: 1-line block ×3, first 2 shown]
	s_and_not1_b32 vcc_lo, exec_lo, s35
	s_mov_b32 s40, 0
	s_cbranch_vccnz .LBB9_10
; %bb.5:                                ;   in Loop: Header=BB9_3 Depth=1
	v_dual_mov_b32 v4, 0 :: v_dual_mov_b32 v5, v2
	v_mov_b32_e32 v6, 0
	s_mov_b32 s41, s36
	s_mov_b64 s[0:1], s[22:23]
	s_delay_alu instid0(VALU_DEP_2)
	v_mov_b32_e32 v0, v4
	s_set_inst_prefetch_distance 0x1
	.p2align	6
.LBB9_6:                                ;   Parent Loop BB9_3 Depth=1
                                        ; =>  This Inner Loop Header: Depth=2
	s_clause 0x2
	s_load_b128 s[44:47], s[0:1], 0x18
	s_load_b64 s[42:43], s[0:1], 0x28
	s_load_b128 s[48:51], s[0:1], 0xd8
	s_waitcnt lgkmcnt(0)
	v_mul_hi_u32 v7, s45, v5
	s_delay_alu instid0(VALU_DEP_1) | instskip(NEXT) | instid1(VALU_DEP_1)
	v_add_nc_u32_e32 v7, v5, v7
	v_lshrrev_b32_e32 v7, s46, v7
	s_delay_alu instid0(VALU_DEP_1)
	v_mul_hi_u32 v8, s42, v7
	v_mul_lo_u32 v9, v7, s44
	s_load_b64 s[44:45], s[0:1], 0xe8
	s_add_u32 s0, s0, 24
	s_addc_u32 s1, s1, 0
	s_add_i32 s41, s41, -2
	s_delay_alu instid0(SALU_CYCLE_1) | instskip(NEXT) | instid1(VALU_DEP_2)
	s_cmp_lg_u32 s41, 0
	v_add_nc_u32_e32 v8, v7, v8
	s_delay_alu instid0(VALU_DEP_2) | instskip(NEXT) | instid1(VALU_DEP_2)
	v_sub_nc_u32_e32 v9, v5, v9
	v_lshrrev_b32_e32 v5, s43, v8
	s_delay_alu instid0(VALU_DEP_2) | instskip(NEXT) | instid1(VALU_DEP_2)
	v_mul_lo_u32 v10, v9, s48
	v_mul_lo_u32 v8, v5, s47
	s_delay_alu instid0(VALU_DEP_1) | instskip(SKIP_2) | instid1(VALU_DEP_3)
	v_sub_nc_u32_e32 v7, v7, v8
	v_mul_lo_u32 v8, v9, s49
	v_mul_lo_u32 v9, v9, s50
	;; [unrolled: 1-line block ×3, first 2 shown]
	s_waitcnt lgkmcnt(0)
	v_mul_lo_u32 v12, v7, s44
	v_mul_lo_u32 v7, v7, s45
	s_delay_alu instid0(VALU_DEP_3) | instskip(NEXT) | instid1(VALU_DEP_3)
	v_add3_u32 v0, v10, v0, v11
	v_add3_u32 v6, v8, v6, v12
	s_delay_alu instid0(VALU_DEP_3)
	v_add3_u32 v4, v9, v4, v7
	s_cbranch_scc1 .LBB9_6
; %bb.7:                                ;   in Loop: Header=BB9_3 Depth=1
	s_set_inst_prefetch_distance 0x2
	s_and_not1_b32 vcc_lo, exec_lo, s37
	s_cbranch_vccnz .LBB9_10
; %bb.8:                                ;   in Loop: Header=BB9_3 Depth=1
	s_clause 0x3
	s_load_b64 s[42:43], s[0:1], 0x18
	s_load_b32 s41, s[0:1], 0x20
	s_load_b64 s[44:45], s[0:1], 0xd8
	s_load_b32 s0, s[0:1], 0xe0
	s_waitcnt lgkmcnt(0)
	v_mul_hi_u32 v7, s43, v5
	s_delay_alu instid0(VALU_DEP_1) | instskip(NEXT) | instid1(VALU_DEP_1)
	v_add_nc_u32_e32 v7, v5, v7
	v_lshrrev_b32_e32 v7, s41, v7
	s_delay_alu instid0(VALU_DEP_1) | instskip(NEXT) | instid1(VALU_DEP_1)
	v_mul_lo_u32 v7, v7, s42
	v_sub_nc_u32_e32 v10, v5, v7
	s_delay_alu instid0(VALU_DEP_1) | instskip(NEXT) | instid1(VALU_DEP_1)
	v_mad_u64_u32 v[7:8], null, v10, s44, v[0:1]
	v_mad_u64_u32 v[8:9], null, v10, s45, v[6:7]
	;; [unrolled: 1-line block ×3, first 2 shown]
	v_mov_b32_e32 v0, v7
	s_delay_alu instid0(VALU_DEP_3) | instskip(NEXT) | instid1(VALU_DEP_3)
	v_mov_b32_e32 v6, v8
	v_mov_b32_e32 v4, v5
	s_branch .LBB9_10
.LBB9_9:                                ;   in Loop: Header=BB9_3 Depth=1
	s_mov_b32 s40, -1
                                        ; implicit-def: $vgpr6
                                        ; implicit-def: $vgpr4
.LBB9_10:                               ;   in Loop: Header=BB9_3 Depth=1
	s_delay_alu instid0(SALU_CYCLE_1)
	s_and_not1_b32 vcc_lo, exec_lo, s40
	s_cbranch_vccnz .LBB9_2
; %bb.11:                               ;   in Loop: Header=BB9_3 Depth=1
	v_mul_hi_u32 v0, v2, s6
	s_and_not1_b32 vcc_lo, exec_lo, s4
	s_delay_alu instid0(VALU_DEP_1) | instskip(NEXT) | instid1(VALU_DEP_1)
	v_add_nc_u32_e32 v0, v0, v2
	v_lshrrev_b32_e32 v5, s7, v0
	s_delay_alu instid0(VALU_DEP_1) | instskip(NEXT) | instid1(VALU_DEP_1)
	v_mul_lo_u32 v0, v5, s5
	v_sub_nc_u32_e32 v4, v2, v0
	s_delay_alu instid0(VALU_DEP_1)
	v_mul_lo_u32 v0, v4, s16
	v_mul_lo_u32 v6, v4, s17
	;; [unrolled: 1-line block ×3, first 2 shown]
	s_cbranch_vccnz .LBB9_2
; %bb.12:                               ;   in Loop: Header=BB9_3 Depth=1
	v_mul_hi_u32 v7, s9, v5
	s_delay_alu instid0(VALU_DEP_1) | instskip(NEXT) | instid1(VALU_DEP_1)
	v_add_nc_u32_e32 v7, v5, v7
	v_lshrrev_b32_e32 v7, s10, v7
	s_delay_alu instid0(VALU_DEP_1) | instskip(NEXT) | instid1(VALU_DEP_1)
	v_mul_lo_u32 v7, v7, s8
	v_sub_nc_u32_e32 v10, v5, v7
	s_delay_alu instid0(VALU_DEP_1) | instskip(NEXT) | instid1(VALU_DEP_1)
	v_mad_u64_u32 v[7:8], null, v10, s19, v[0:1]
	v_mad_u64_u32 v[8:9], null, v10, s26, v[6:7]
	;; [unrolled: 1-line block ×3, first 2 shown]
	v_mov_b32_e32 v0, v7
	s_delay_alu instid0(VALU_DEP_3) | instskip(NEXT) | instid1(VALU_DEP_3)
	v_mov_b32_e32 v6, v8
	v_mov_b32_e32 v4, v5
	s_branch .LBB9_2
.LBB9_13:
	s_nop 0
	s_sendmsg sendmsg(MSG_DEALLOC_VGPRS)
	s_endpgm
	.section	.rodata,"a",@progbits
	.p2align	6, 0x0
	.amdhsa_kernel _ZN2at6native12cross_kernelIs16OffsetCalculatorILi3EjLb0EEiEEviPT_PKS4_S7_T0_T1_S9_S9_
		.amdhsa_group_segment_fixed_size 0
		.amdhsa_private_segment_fixed_size 0
		.amdhsa_kernarg_size 688
		.amdhsa_user_sgpr_count 15
		.amdhsa_user_sgpr_dispatch_ptr 0
		.amdhsa_user_sgpr_queue_ptr 0
		.amdhsa_user_sgpr_kernarg_segment_ptr 1
		.amdhsa_user_sgpr_dispatch_id 0
		.amdhsa_user_sgpr_private_segment_size 0
		.amdhsa_wavefront_size32 1
		.amdhsa_uses_dynamic_stack 0
		.amdhsa_enable_private_segment 0
		.amdhsa_system_sgpr_workgroup_id_x 1
		.amdhsa_system_sgpr_workgroup_id_y 0
		.amdhsa_system_sgpr_workgroup_id_z 0
		.amdhsa_system_sgpr_workgroup_info 0
		.amdhsa_system_vgpr_workitem_id 0
		.amdhsa_next_free_vgpr 15
		.amdhsa_next_free_sgpr 52
		.amdhsa_reserve_vcc 1
		.amdhsa_float_round_mode_32 0
		.amdhsa_float_round_mode_16_64 0
		.amdhsa_float_denorm_mode_32 3
		.amdhsa_float_denorm_mode_16_64 3
		.amdhsa_dx10_clamp 1
		.amdhsa_ieee_mode 1
		.amdhsa_fp16_overflow 0
		.amdhsa_workgroup_processor_mode 1
		.amdhsa_memory_ordered 1
		.amdhsa_forward_progress 0
		.amdhsa_shared_vgpr_count 0
		.amdhsa_exception_fp_ieee_invalid_op 0
		.amdhsa_exception_fp_denorm_src 0
		.amdhsa_exception_fp_ieee_div_zero 0
		.amdhsa_exception_fp_ieee_overflow 0
		.amdhsa_exception_fp_ieee_underflow 0
		.amdhsa_exception_fp_ieee_inexact 0
		.amdhsa_exception_int_div_zero 0
	.end_amdhsa_kernel
	.section	.text._ZN2at6native12cross_kernelIs16OffsetCalculatorILi3EjLb0EEiEEviPT_PKS4_S7_T0_T1_S9_S9_,"axG",@progbits,_ZN2at6native12cross_kernelIs16OffsetCalculatorILi3EjLb0EEiEEviPT_PKS4_S7_T0_T1_S9_S9_,comdat
.Lfunc_end9:
	.size	_ZN2at6native12cross_kernelIs16OffsetCalculatorILi3EjLb0EEiEEviPT_PKS4_S7_T0_T1_S9_S9_, .Lfunc_end9-_ZN2at6native12cross_kernelIs16OffsetCalculatorILi3EjLb0EEiEEviPT_PKS4_S7_T0_T1_S9_S9_
                                        ; -- End function
	.section	.AMDGPU.csdata,"",@progbits
; Kernel info:
; codeLenInByte = 1264
; NumSgprs: 54
; NumVgprs: 15
; ScratchSize: 0
; MemoryBound: 0
; FloatMode: 240
; IeeeMode: 1
; LDSByteSize: 0 bytes/workgroup (compile time only)
; SGPRBlocks: 6
; VGPRBlocks: 1
; NumSGPRsForWavesPerEU: 54
; NumVGPRsForWavesPerEU: 15
; Occupancy: 16
; WaveLimiterHint : 1
; COMPUTE_PGM_RSRC2:SCRATCH_EN: 0
; COMPUTE_PGM_RSRC2:USER_SGPR: 15
; COMPUTE_PGM_RSRC2:TRAP_HANDLER: 0
; COMPUTE_PGM_RSRC2:TGID_X_EN: 1
; COMPUTE_PGM_RSRC2:TGID_Y_EN: 0
; COMPUTE_PGM_RSRC2:TGID_Z_EN: 0
; COMPUTE_PGM_RSRC2:TIDIG_COMP_CNT: 0
	.section	.text._ZN2at6native12cross_kernelId16OffsetCalculatorILi3EjLb0EElEEviPT_PKS4_S7_T0_T1_S9_S9_,"axG",@progbits,_ZN2at6native12cross_kernelId16OffsetCalculatorILi3EjLb0EElEEviPT_PKS4_S7_T0_T1_S9_S9_,comdat
	.protected	_ZN2at6native12cross_kernelId16OffsetCalculatorILi3EjLb0EElEEviPT_PKS4_S7_T0_T1_S9_S9_ ; -- Begin function _ZN2at6native12cross_kernelId16OffsetCalculatorILi3EjLb0EElEEviPT_PKS4_S7_T0_T1_S9_S9_
	.globl	_ZN2at6native12cross_kernelId16OffsetCalculatorILi3EjLb0EElEEviPT_PKS4_S7_T0_T1_S9_S9_
	.p2align	8
	.type	_ZN2at6native12cross_kernelId16OffsetCalculatorILi3EjLb0EElEEviPT_PKS4_S7_T0_T1_S9_S9_,@function
_ZN2at6native12cross_kernelId16OffsetCalculatorILi3EjLb0EElEEviPT_PKS4_S7_T0_T1_S9_S9_: ; @_ZN2at6native12cross_kernelId16OffsetCalculatorILi3EjLb0EElEEviPT_PKS4_S7_T0_T1_S9_S9_
; %bb.0:
	s_clause 0x1
	s_load_b32 s2, s[0:1], 0x0
	s_load_b32 s4, s[0:1], 0x1cc
	v_mov_b32_e32 v1, 0
	s_waitcnt lgkmcnt(0)
	s_ashr_i32 s3, s2, 31
	s_add_u32 s12, s0, 0x1c0
	s_addc_u32 s13, s1, 0
	s_and_b32 s28, s4, 0xffff
	s_mov_b32 s4, exec_lo
	v_mad_u64_u32 v[2:3], null, s28, s15, v[0:1]
	s_delay_alu instid0(VALU_DEP_1)
	v_cmpx_gt_i64_e64 s[2:3], v[2:3]
	s_cbranch_execz .LBB10_13
; %bb.1:
	s_load_b256 s[4:11], s[0:1], 0x20
	s_load_b32 s29, s[12:13], 0x0
	s_clause 0x5
	s_load_b64 s[30:31], s[0:1], 0x1b8
	s_load_b128 s[12:15], s[0:1], 0x8
	s_load_b64 s[24:25], s[0:1], 0x18
	s_load_b128 s[20:23], s[0:1], 0x1a8
	s_load_b128 s[16:19], s[0:1], 0xe4
	s_load_b64 s[26:27], s[0:1], 0xf4
	s_waitcnt lgkmcnt(0)
	s_mov_b32 s11, 0
	s_add_i32 s36, s4, -1
	s_mul_i32 s33, s29, s28
	s_cmp_gt_u32 s36, 1
	s_cselect_b32 s34, -1, 0
	s_cmp_lg_u32 s4, 0
	s_cselect_b32 s35, -1, 0
	s_min_u32 s37, s36, 15
	s_cmp_gt_u32 s4, 1
	s_cselect_b32 s4, -1, 0
	s_add_i32 s36, s37, 1
	s_lshl_b64 s[28:29], s[30:31], 4
	s_and_b32 s36, s36, 30
	s_bitcmp0_b32 s37, 0
	s_cselect_b32 s37, -1, 0
	s_lshl_b64 s[30:31], s[30:31], 3
	s_lshl_b64 s[22:23], s[22:23], 3
	s_sub_u32 s38, 0, s30
	s_subb_u32 s39, 0, s31
	s_lshl_b64 s[20:21], s[20:21], 3
	s_add_u32 s30, s0, 12
	s_addc_u32 s31, s1, 0
	s_branch .LBB10_3
.LBB10_2:                               ;   in Loop: Header=BB10_3 Depth=1
	v_mov_b32_e32 v7, v1
	v_mov_b32_e32 v5, v1
	s_delay_alu instid0(VALU_DEP_2) | instskip(NEXT) | instid1(VALU_DEP_2)
	v_lshlrev_b64 v[6:7], 3, v[6:7]
	v_lshlrev_b64 v[4:5], 3, v[4:5]
	s_delay_alu instid0(VALU_DEP_2) | instskip(NEXT) | instid1(VALU_DEP_3)
	v_add_co_u32 v6, vcc_lo, s14, v6
	v_add_co_ci_u32_e32 v7, vcc_lo, s15, v7, vcc_lo
	s_delay_alu instid0(VALU_DEP_3) | instskip(NEXT) | instid1(VALU_DEP_4)
	v_add_co_u32 v4, vcc_lo, s24, v4
	v_add_co_ci_u32_e32 v5, vcc_lo, s25, v5, vcc_lo
	s_delay_alu instid0(VALU_DEP_4) | instskip(NEXT) | instid1(VALU_DEP_4)
	v_add_co_u32 v8, vcc_lo, v6, s22
	v_add_co_ci_u32_e32 v9, vcc_lo, s23, v7, vcc_lo
	s_delay_alu instid0(VALU_DEP_4) | instskip(NEXT) | instid1(VALU_DEP_4)
	;; [unrolled: 3-line block ×4, first 2 shown]
	v_add_co_u32 v14, vcc_lo, v10, s38
	v_add_co_ci_u32_e32 v15, vcc_lo, s39, v11, vcc_lo
	global_load_b64 v[10:11], v[10:11], off
	global_load_b64 v[12:13], v[12:13], off
	s_clause 0x1
	global_load_b64 v[14:15], v[14:15], off
	global_load_b64 v[4:5], v[4:5], off
	s_clause 0x1
	global_load_b64 v[6:7], v[6:7], off
	global_load_b64 v[8:9], v[8:9], off
	s_waitcnt vmcnt(3)
	v_mul_f64 v[16:17], v[12:13], v[14:15]
	s_waitcnt vmcnt(1)
	v_mul_f64 v[18:19], v[10:11], v[6:7]
	;; [unrolled: 2-line block ×3, first 2 shown]
	s_delay_alu instid0(VALU_DEP_3) | instskip(SKIP_1) | instid1(VALU_DEP_4)
	v_fma_f64 v[8:9], v[8:9], v[10:11], -v[16:17]
	v_lshlrev_b64 v[10:11], 3, v[0:1]
	v_fma_f64 v[4:5], v[12:13], v[4:5], -v[18:19]
	s_delay_alu instid0(VALU_DEP_4) | instskip(NEXT) | instid1(VALU_DEP_3)
	v_fma_f64 v[6:7], v[14:15], v[6:7], -v[20:21]
	v_add_co_u32 v10, vcc_lo, s12, v10
	s_delay_alu instid0(VALU_DEP_4) | instskip(SKIP_2) | instid1(VALU_DEP_4)
	v_add_co_ci_u32_e32 v11, vcc_lo, s13, v11, vcc_lo
	v_add_co_u32 v2, vcc_lo, v2, s33
	v_add_co_ci_u32_e32 v3, vcc_lo, 0, v3, vcc_lo
	v_add_co_u32 v12, vcc_lo, v10, s20
	s_delay_alu instid0(VALU_DEP_4) | instskip(NEXT) | instid1(VALU_DEP_3)
	v_add_co_ci_u32_e32 v13, vcc_lo, s21, v11, vcc_lo
	v_cmp_le_i64_e32 vcc_lo, s[2:3], v[2:3]
	s_delay_alu instid0(VALU_DEP_3) | instskip(NEXT) | instid1(VALU_DEP_1)
	v_add_co_u32 v14, s0, v12, s20
	v_add_co_ci_u32_e64 v15, s0, s21, v13, s0
	s_clause 0x2
	global_store_b64 v[10:11], v[8:9], off
	global_store_b64 v[12:13], v[4:5], off
	;; [unrolled: 1-line block ×3, first 2 shown]
	s_or_b32 s11, vcc_lo, s11
	s_delay_alu instid0(SALU_CYCLE_1)
	s_and_not1_b32 exec_lo, exec_lo, s11
	s_cbranch_execz .LBB10_13
.LBB10_3:                               ; =>This Loop Header: Depth=1
                                        ;     Child Loop BB10_6 Depth 2
	s_and_not1_b32 vcc_lo, exec_lo, s34
	s_cbranch_vccnz .LBB10_9
; %bb.4:                                ;   in Loop: Header=BB10_3 Depth=1
	v_mov_b32_e32 v0, 0
	v_mov_b32_e32 v6, 0
	;; [unrolled: 1-line block ×3, first 2 shown]
	s_and_not1_b32 vcc_lo, exec_lo, s35
	s_mov_b32 s40, 0
	s_cbranch_vccnz .LBB10_10
; %bb.5:                                ;   in Loop: Header=BB10_3 Depth=1
	v_dual_mov_b32 v4, 0 :: v_dual_mov_b32 v5, v2
	v_mov_b32_e32 v6, 0
	s_mov_b32 s41, s36
	s_mov_b64 s[0:1], s[30:31]
	s_delay_alu instid0(VALU_DEP_2)
	v_mov_b32_e32 v0, v4
	s_set_inst_prefetch_distance 0x1
	.p2align	6
.LBB10_6:                               ;   Parent Loop BB10_3 Depth=1
                                        ; =>  This Inner Loop Header: Depth=2
	s_clause 0x2
	s_load_b128 s[44:47], s[0:1], 0x18
	s_load_b64 s[42:43], s[0:1], 0x28
	s_load_b128 s[48:51], s[0:1], 0xd8
	s_waitcnt lgkmcnt(0)
	v_mul_hi_u32 v7, s45, v5
	s_delay_alu instid0(VALU_DEP_1) | instskip(NEXT) | instid1(VALU_DEP_1)
	v_add_nc_u32_e32 v7, v5, v7
	v_lshrrev_b32_e32 v7, s46, v7
	s_delay_alu instid0(VALU_DEP_1)
	v_mul_hi_u32 v8, s42, v7
	v_mul_lo_u32 v9, v7, s44
	s_load_b64 s[44:45], s[0:1], 0xe8
	s_add_u32 s0, s0, 24
	s_addc_u32 s1, s1, 0
	s_add_i32 s41, s41, -2
	s_delay_alu instid0(SALU_CYCLE_1) | instskip(NEXT) | instid1(VALU_DEP_2)
	s_cmp_lg_u32 s41, 0
	v_add_nc_u32_e32 v8, v7, v8
	s_delay_alu instid0(VALU_DEP_2) | instskip(NEXT) | instid1(VALU_DEP_2)
	v_sub_nc_u32_e32 v9, v5, v9
	v_lshrrev_b32_e32 v5, s43, v8
	s_delay_alu instid0(VALU_DEP_2) | instskip(NEXT) | instid1(VALU_DEP_2)
	v_mul_lo_u32 v10, v9, s48
	v_mul_lo_u32 v8, v5, s47
	s_delay_alu instid0(VALU_DEP_1) | instskip(SKIP_2) | instid1(VALU_DEP_3)
	v_sub_nc_u32_e32 v7, v7, v8
	v_mul_lo_u32 v8, v9, s49
	v_mul_lo_u32 v9, v9, s50
	;; [unrolled: 1-line block ×3, first 2 shown]
	s_waitcnt lgkmcnt(0)
	v_mul_lo_u32 v12, v7, s44
	v_mul_lo_u32 v7, v7, s45
	s_delay_alu instid0(VALU_DEP_3) | instskip(NEXT) | instid1(VALU_DEP_3)
	v_add3_u32 v0, v10, v0, v11
	v_add3_u32 v6, v8, v6, v12
	s_delay_alu instid0(VALU_DEP_3)
	v_add3_u32 v4, v9, v4, v7
	s_cbranch_scc1 .LBB10_6
; %bb.7:                                ;   in Loop: Header=BB10_3 Depth=1
	s_set_inst_prefetch_distance 0x2
	s_and_not1_b32 vcc_lo, exec_lo, s37
	s_cbranch_vccnz .LBB10_10
; %bb.8:                                ;   in Loop: Header=BB10_3 Depth=1
	s_clause 0x3
	s_load_b64 s[42:43], s[0:1], 0x18
	s_load_b32 s41, s[0:1], 0x20
	s_load_b64 s[44:45], s[0:1], 0xd8
	s_load_b32 s0, s[0:1], 0xe0
	s_waitcnt lgkmcnt(0)
	v_mul_hi_u32 v7, s43, v5
	s_delay_alu instid0(VALU_DEP_1) | instskip(NEXT) | instid1(VALU_DEP_1)
	v_add_nc_u32_e32 v7, v5, v7
	v_lshrrev_b32_e32 v7, s41, v7
	s_delay_alu instid0(VALU_DEP_1) | instskip(NEXT) | instid1(VALU_DEP_1)
	v_mul_lo_u32 v7, v7, s42
	v_sub_nc_u32_e32 v10, v5, v7
	s_delay_alu instid0(VALU_DEP_1) | instskip(NEXT) | instid1(VALU_DEP_1)
	v_mad_u64_u32 v[7:8], null, v10, s44, v[0:1]
	v_mad_u64_u32 v[8:9], null, v10, s45, v[6:7]
	;; [unrolled: 1-line block ×3, first 2 shown]
	v_mov_b32_e32 v0, v7
	s_delay_alu instid0(VALU_DEP_3) | instskip(NEXT) | instid1(VALU_DEP_3)
	v_mov_b32_e32 v6, v8
	v_mov_b32_e32 v4, v5
	s_branch .LBB10_10
.LBB10_9:                               ;   in Loop: Header=BB10_3 Depth=1
	s_mov_b32 s40, -1
                                        ; implicit-def: $vgpr6
                                        ; implicit-def: $vgpr4
.LBB10_10:                              ;   in Loop: Header=BB10_3 Depth=1
	s_delay_alu instid0(SALU_CYCLE_1)
	s_and_not1_b32 vcc_lo, exec_lo, s40
	s_cbranch_vccnz .LBB10_2
; %bb.11:                               ;   in Loop: Header=BB10_3 Depth=1
	v_mul_hi_u32 v0, v2, s6
	s_and_not1_b32 vcc_lo, exec_lo, s4
	s_delay_alu instid0(VALU_DEP_1) | instskip(NEXT) | instid1(VALU_DEP_1)
	v_add_nc_u32_e32 v0, v0, v2
	v_lshrrev_b32_e32 v5, s7, v0
	s_delay_alu instid0(VALU_DEP_1) | instskip(NEXT) | instid1(VALU_DEP_1)
	v_mul_lo_u32 v0, v5, s5
	v_sub_nc_u32_e32 v4, v2, v0
	s_delay_alu instid0(VALU_DEP_1)
	v_mul_lo_u32 v0, v4, s16
	v_mul_lo_u32 v6, v4, s17
	;; [unrolled: 1-line block ×3, first 2 shown]
	s_cbranch_vccnz .LBB10_2
; %bb.12:                               ;   in Loop: Header=BB10_3 Depth=1
	v_mul_hi_u32 v7, s9, v5
	s_delay_alu instid0(VALU_DEP_1) | instskip(NEXT) | instid1(VALU_DEP_1)
	v_add_nc_u32_e32 v7, v5, v7
	v_lshrrev_b32_e32 v7, s10, v7
	s_delay_alu instid0(VALU_DEP_1) | instskip(NEXT) | instid1(VALU_DEP_1)
	v_mul_lo_u32 v7, v7, s8
	v_sub_nc_u32_e32 v10, v5, v7
	s_delay_alu instid0(VALU_DEP_1) | instskip(NEXT) | instid1(VALU_DEP_1)
	v_mad_u64_u32 v[7:8], null, v10, s19, v[0:1]
	v_mad_u64_u32 v[8:9], null, v10, s26, v[6:7]
	;; [unrolled: 1-line block ×3, first 2 shown]
	v_mov_b32_e32 v0, v7
	s_delay_alu instid0(VALU_DEP_3) | instskip(NEXT) | instid1(VALU_DEP_3)
	v_mov_b32_e32 v6, v8
	v_mov_b32_e32 v4, v5
	s_branch .LBB10_2
.LBB10_13:
	s_nop 0
	s_sendmsg sendmsg(MSG_DEALLOC_VGPRS)
	s_endpgm
	.section	.rodata,"a",@progbits
	.p2align	6, 0x0
	.amdhsa_kernel _ZN2at6native12cross_kernelId16OffsetCalculatorILi3EjLb0EElEEviPT_PKS4_S7_T0_T1_S9_S9_
		.amdhsa_group_segment_fixed_size 0
		.amdhsa_private_segment_fixed_size 0
		.amdhsa_kernarg_size 704
		.amdhsa_user_sgpr_count 15
		.amdhsa_user_sgpr_dispatch_ptr 0
		.amdhsa_user_sgpr_queue_ptr 0
		.amdhsa_user_sgpr_kernarg_segment_ptr 1
		.amdhsa_user_sgpr_dispatch_id 0
		.amdhsa_user_sgpr_private_segment_size 0
		.amdhsa_wavefront_size32 1
		.amdhsa_uses_dynamic_stack 0
		.amdhsa_enable_private_segment 0
		.amdhsa_system_sgpr_workgroup_id_x 1
		.amdhsa_system_sgpr_workgroup_id_y 0
		.amdhsa_system_sgpr_workgroup_id_z 0
		.amdhsa_system_sgpr_workgroup_info 0
		.amdhsa_system_vgpr_workitem_id 0
		.amdhsa_next_free_vgpr 22
		.amdhsa_next_free_sgpr 52
		.amdhsa_reserve_vcc 1
		.amdhsa_float_round_mode_32 0
		.amdhsa_float_round_mode_16_64 0
		.amdhsa_float_denorm_mode_32 3
		.amdhsa_float_denorm_mode_16_64 3
		.amdhsa_dx10_clamp 1
		.amdhsa_ieee_mode 1
		.amdhsa_fp16_overflow 0
		.amdhsa_workgroup_processor_mode 1
		.amdhsa_memory_ordered 1
		.amdhsa_forward_progress 0
		.amdhsa_shared_vgpr_count 0
		.amdhsa_exception_fp_ieee_invalid_op 0
		.amdhsa_exception_fp_denorm_src 0
		.amdhsa_exception_fp_ieee_div_zero 0
		.amdhsa_exception_fp_ieee_overflow 0
		.amdhsa_exception_fp_ieee_underflow 0
		.amdhsa_exception_fp_ieee_inexact 0
		.amdhsa_exception_int_div_zero 0
	.end_amdhsa_kernel
	.section	.text._ZN2at6native12cross_kernelId16OffsetCalculatorILi3EjLb0EElEEviPT_PKS4_S7_T0_T1_S9_S9_,"axG",@progbits,_ZN2at6native12cross_kernelId16OffsetCalculatorILi3EjLb0EElEEviPT_PKS4_S7_T0_T1_S9_S9_,comdat
.Lfunc_end10:
	.size	_ZN2at6native12cross_kernelId16OffsetCalculatorILi3EjLb0EElEEviPT_PKS4_S7_T0_T1_S9_S9_, .Lfunc_end10-_ZN2at6native12cross_kernelId16OffsetCalculatorILi3EjLb0EElEEviPT_PKS4_S7_T0_T1_S9_S9_
                                        ; -- End function
	.section	.AMDGPU.csdata,"",@progbits
; Kernel info:
; codeLenInByte = 1220
; NumSgprs: 54
; NumVgprs: 22
; ScratchSize: 0
; MemoryBound: 0
; FloatMode: 240
; IeeeMode: 1
; LDSByteSize: 0 bytes/workgroup (compile time only)
; SGPRBlocks: 6
; VGPRBlocks: 2
; NumSGPRsForWavesPerEU: 54
; NumVGPRsForWavesPerEU: 22
; Occupancy: 16
; WaveLimiterHint : 1
; COMPUTE_PGM_RSRC2:SCRATCH_EN: 0
; COMPUTE_PGM_RSRC2:USER_SGPR: 15
; COMPUTE_PGM_RSRC2:TRAP_HANDLER: 0
; COMPUTE_PGM_RSRC2:TGID_X_EN: 1
; COMPUTE_PGM_RSRC2:TGID_Y_EN: 0
; COMPUTE_PGM_RSRC2:TGID_Z_EN: 0
; COMPUTE_PGM_RSRC2:TIDIG_COMP_CNT: 0
	.section	.text._ZN2at6native12cross_kernelId16OffsetCalculatorILi3EjLb0EEiEEviPT_PKS4_S7_T0_T1_S9_S9_,"axG",@progbits,_ZN2at6native12cross_kernelId16OffsetCalculatorILi3EjLb0EEiEEviPT_PKS4_S7_T0_T1_S9_S9_,comdat
	.protected	_ZN2at6native12cross_kernelId16OffsetCalculatorILi3EjLb0EEiEEviPT_PKS4_S7_T0_T1_S9_S9_ ; -- Begin function _ZN2at6native12cross_kernelId16OffsetCalculatorILi3EjLb0EEiEEviPT_PKS4_S7_T0_T1_S9_S9_
	.globl	_ZN2at6native12cross_kernelId16OffsetCalculatorILi3EjLb0EEiEEviPT_PKS4_S7_T0_T1_S9_S9_
	.p2align	8
	.type	_ZN2at6native12cross_kernelId16OffsetCalculatorILi3EjLb0EEiEEviPT_PKS4_S7_T0_T1_S9_S9_,@function
_ZN2at6native12cross_kernelId16OffsetCalculatorILi3EjLb0EEiEEviPT_PKS4_S7_T0_T1_S9_S9_: ; @_ZN2at6native12cross_kernelId16OffsetCalculatorILi3EjLb0EEiEEviPT_PKS4_S7_T0_T1_S9_S9_
; %bb.0:
	s_clause 0x1
	s_load_b32 s2, s[0:1], 0x0
	s_load_b32 s4, s[0:1], 0x1bc
	v_mov_b32_e32 v1, 0
	s_waitcnt lgkmcnt(0)
	s_ashr_i32 s3, s2, 31
	s_add_u32 s12, s0, 0x1b0
	s_addc_u32 s13, s1, 0
	s_and_b32 s28, s4, 0xffff
	s_mov_b32 s4, exec_lo
	v_mad_u64_u32 v[2:3], null, s28, s15, v[0:1]
	s_delay_alu instid0(VALU_DEP_1)
	v_cmpx_gt_i64_e64 s[2:3], v[2:3]
	s_cbranch_execz .LBB11_13
; %bb.1:
	s_clause 0x1
	s_load_b256 s[4:11], s[0:1], 0x20
	s_load_b128 s[20:23], s[0:1], 0x1a4
	s_waitcnt lgkmcnt(0)
	s_load_b32 s23, s[12:13], 0x0
	s_clause 0x3
	s_load_b128 s[12:15], s[0:1], 0x8
	s_load_b64 s[24:25], s[0:1], 0x18
	s_load_b128 s[16:19], s[0:1], 0xe4
	s_load_b64 s[26:27], s[0:1], 0xf4
	s_mov_b32 s11, 0
	s_add_i32 s29, s4, -1
	s_waitcnt lgkmcnt(0)
	s_mul_i32 s33, s23, s28
	s_cmp_gt_u32 s29, 1
	s_mov_b32 s30, s21
	s_cselect_b32 s34, -1, 0
	s_cmp_lg_u32 s4, 0
	s_cselect_b32 s35, -1, 0
	s_min_u32 s23, s29, 15
	s_cmp_gt_u32 s4, 1
	s_cselect_b32 s4, -1, 0
	s_lshl_b32 s40, s22, 1
	s_add_i32 s28, s23, 1
	s_ashr_i32 s31, s21, 31
	s_ashr_i32 s21, s20, 31
	s_ashr_i32 s41, s40, 31
	s_and_b32 s36, s28, 30
	s_bitcmp0_b32 s23, 0
	s_cselect_b32 s37, -1, 0
	s_ashr_i32 s23, s22, 31
	s_lshl_b64 s[28:29], s[30:31], 3
	s_lshl_b64 s[22:23], s[22:23], 3
	s_delay_alu instid0(SALU_CYCLE_1)
	s_sub_u32 s38, 0, s22
	s_subb_u32 s39, 0, s23
	s_lshl_b64 s[20:21], s[20:21], 3
	s_add_u32 s22, s0, 12
	s_addc_u32 s23, s1, 0
	s_lshl_b64 s[30:31], s[40:41], 3
	s_branch .LBB11_3
.LBB11_2:                               ;   in Loop: Header=BB11_3 Depth=1
	v_mov_b32_e32 v7, v1
	v_mov_b32_e32 v5, v1
	s_delay_alu instid0(VALU_DEP_2) | instskip(NEXT) | instid1(VALU_DEP_2)
	v_lshlrev_b64 v[6:7], 3, v[6:7]
	v_lshlrev_b64 v[4:5], 3, v[4:5]
	s_delay_alu instid0(VALU_DEP_2) | instskip(NEXT) | instid1(VALU_DEP_3)
	v_add_co_u32 v6, vcc_lo, s14, v6
	v_add_co_ci_u32_e32 v7, vcc_lo, s15, v7, vcc_lo
	s_delay_alu instid0(VALU_DEP_3) | instskip(NEXT) | instid1(VALU_DEP_4)
	v_add_co_u32 v4, vcc_lo, s24, v4
	v_add_co_ci_u32_e32 v5, vcc_lo, s25, v5, vcc_lo
	s_delay_alu instid0(VALU_DEP_4) | instskip(NEXT) | instid1(VALU_DEP_4)
	v_add_co_u32 v8, vcc_lo, v6, s28
	v_add_co_ci_u32_e32 v9, vcc_lo, s29, v7, vcc_lo
	s_delay_alu instid0(VALU_DEP_4) | instskip(NEXT) | instid1(VALU_DEP_4)
	;; [unrolled: 3-line block ×4, first 2 shown]
	v_add_co_u32 v14, vcc_lo, v10, s38
	v_add_co_ci_u32_e32 v15, vcc_lo, s39, v11, vcc_lo
	global_load_b64 v[10:11], v[10:11], off
	global_load_b64 v[12:13], v[12:13], off
	s_clause 0x1
	global_load_b64 v[14:15], v[14:15], off
	global_load_b64 v[4:5], v[4:5], off
	s_clause 0x1
	global_load_b64 v[6:7], v[6:7], off
	global_load_b64 v[8:9], v[8:9], off
	s_waitcnt vmcnt(3)
	v_mul_f64 v[16:17], v[12:13], v[14:15]
	s_waitcnt vmcnt(1)
	v_mul_f64 v[18:19], v[10:11], v[6:7]
	;; [unrolled: 2-line block ×3, first 2 shown]
	s_delay_alu instid0(VALU_DEP_3) | instskip(SKIP_1) | instid1(VALU_DEP_4)
	v_fma_f64 v[8:9], v[8:9], v[10:11], -v[16:17]
	v_lshlrev_b64 v[10:11], 3, v[0:1]
	v_fma_f64 v[4:5], v[12:13], v[4:5], -v[18:19]
	s_delay_alu instid0(VALU_DEP_4) | instskip(NEXT) | instid1(VALU_DEP_3)
	v_fma_f64 v[6:7], v[14:15], v[6:7], -v[20:21]
	v_add_co_u32 v10, vcc_lo, s12, v10
	s_delay_alu instid0(VALU_DEP_4) | instskip(SKIP_2) | instid1(VALU_DEP_4)
	v_add_co_ci_u32_e32 v11, vcc_lo, s13, v11, vcc_lo
	v_add_co_u32 v2, vcc_lo, v2, s33
	v_add_co_ci_u32_e32 v3, vcc_lo, 0, v3, vcc_lo
	v_add_co_u32 v12, vcc_lo, v10, s20
	s_delay_alu instid0(VALU_DEP_4) | instskip(NEXT) | instid1(VALU_DEP_3)
	v_add_co_ci_u32_e32 v13, vcc_lo, s21, v11, vcc_lo
	v_cmp_le_i64_e32 vcc_lo, s[2:3], v[2:3]
	s_delay_alu instid0(VALU_DEP_3) | instskip(NEXT) | instid1(VALU_DEP_1)
	v_add_co_u32 v14, s0, v12, s20
	v_add_co_ci_u32_e64 v15, s0, s21, v13, s0
	s_clause 0x2
	global_store_b64 v[10:11], v[8:9], off
	global_store_b64 v[12:13], v[4:5], off
	;; [unrolled: 1-line block ×3, first 2 shown]
	s_or_b32 s11, vcc_lo, s11
	s_delay_alu instid0(SALU_CYCLE_1)
	s_and_not1_b32 exec_lo, exec_lo, s11
	s_cbranch_execz .LBB11_13
.LBB11_3:                               ; =>This Loop Header: Depth=1
                                        ;     Child Loop BB11_6 Depth 2
	s_and_not1_b32 vcc_lo, exec_lo, s34
	s_cbranch_vccnz .LBB11_9
; %bb.4:                                ;   in Loop: Header=BB11_3 Depth=1
	v_mov_b32_e32 v0, 0
	v_mov_b32_e32 v6, 0
	v_mov_b32_e32 v4, 0
	s_and_not1_b32 vcc_lo, exec_lo, s35
	s_mov_b32 s40, 0
	s_cbranch_vccnz .LBB11_10
; %bb.5:                                ;   in Loop: Header=BB11_3 Depth=1
	v_dual_mov_b32 v4, 0 :: v_dual_mov_b32 v5, v2
	v_mov_b32_e32 v6, 0
	s_mov_b32 s41, s36
	s_mov_b64 s[0:1], s[22:23]
	s_delay_alu instid0(VALU_DEP_2)
	v_mov_b32_e32 v0, v4
	s_set_inst_prefetch_distance 0x1
	.p2align	6
.LBB11_6:                               ;   Parent Loop BB11_3 Depth=1
                                        ; =>  This Inner Loop Header: Depth=2
	s_clause 0x2
	s_load_b128 s[44:47], s[0:1], 0x18
	s_load_b64 s[42:43], s[0:1], 0x28
	s_load_b128 s[48:51], s[0:1], 0xd8
	s_waitcnt lgkmcnt(0)
	v_mul_hi_u32 v7, s45, v5
	s_delay_alu instid0(VALU_DEP_1) | instskip(NEXT) | instid1(VALU_DEP_1)
	v_add_nc_u32_e32 v7, v5, v7
	v_lshrrev_b32_e32 v7, s46, v7
	s_delay_alu instid0(VALU_DEP_1)
	v_mul_hi_u32 v8, s42, v7
	v_mul_lo_u32 v9, v7, s44
	s_load_b64 s[44:45], s[0:1], 0xe8
	s_add_u32 s0, s0, 24
	s_addc_u32 s1, s1, 0
	s_add_i32 s41, s41, -2
	s_delay_alu instid0(SALU_CYCLE_1) | instskip(NEXT) | instid1(VALU_DEP_2)
	s_cmp_lg_u32 s41, 0
	v_add_nc_u32_e32 v8, v7, v8
	s_delay_alu instid0(VALU_DEP_2) | instskip(NEXT) | instid1(VALU_DEP_2)
	v_sub_nc_u32_e32 v9, v5, v9
	v_lshrrev_b32_e32 v5, s43, v8
	s_delay_alu instid0(VALU_DEP_2) | instskip(NEXT) | instid1(VALU_DEP_2)
	v_mul_lo_u32 v10, v9, s48
	v_mul_lo_u32 v8, v5, s47
	s_delay_alu instid0(VALU_DEP_1) | instskip(SKIP_2) | instid1(VALU_DEP_3)
	v_sub_nc_u32_e32 v7, v7, v8
	v_mul_lo_u32 v8, v9, s49
	v_mul_lo_u32 v9, v9, s50
	;; [unrolled: 1-line block ×3, first 2 shown]
	s_waitcnt lgkmcnt(0)
	v_mul_lo_u32 v12, v7, s44
	v_mul_lo_u32 v7, v7, s45
	s_delay_alu instid0(VALU_DEP_3) | instskip(NEXT) | instid1(VALU_DEP_3)
	v_add3_u32 v0, v10, v0, v11
	v_add3_u32 v6, v8, v6, v12
	s_delay_alu instid0(VALU_DEP_3)
	v_add3_u32 v4, v9, v4, v7
	s_cbranch_scc1 .LBB11_6
; %bb.7:                                ;   in Loop: Header=BB11_3 Depth=1
	s_set_inst_prefetch_distance 0x2
	s_and_not1_b32 vcc_lo, exec_lo, s37
	s_cbranch_vccnz .LBB11_10
; %bb.8:                                ;   in Loop: Header=BB11_3 Depth=1
	s_clause 0x3
	s_load_b64 s[42:43], s[0:1], 0x18
	s_load_b32 s41, s[0:1], 0x20
	s_load_b64 s[44:45], s[0:1], 0xd8
	s_load_b32 s0, s[0:1], 0xe0
	s_waitcnt lgkmcnt(0)
	v_mul_hi_u32 v7, s43, v5
	s_delay_alu instid0(VALU_DEP_1) | instskip(NEXT) | instid1(VALU_DEP_1)
	v_add_nc_u32_e32 v7, v5, v7
	v_lshrrev_b32_e32 v7, s41, v7
	s_delay_alu instid0(VALU_DEP_1) | instskip(NEXT) | instid1(VALU_DEP_1)
	v_mul_lo_u32 v7, v7, s42
	v_sub_nc_u32_e32 v10, v5, v7
	s_delay_alu instid0(VALU_DEP_1) | instskip(NEXT) | instid1(VALU_DEP_1)
	v_mad_u64_u32 v[7:8], null, v10, s44, v[0:1]
	v_mad_u64_u32 v[8:9], null, v10, s45, v[6:7]
	;; [unrolled: 1-line block ×3, first 2 shown]
	v_mov_b32_e32 v0, v7
	s_delay_alu instid0(VALU_DEP_3) | instskip(NEXT) | instid1(VALU_DEP_3)
	v_mov_b32_e32 v6, v8
	v_mov_b32_e32 v4, v5
	s_branch .LBB11_10
.LBB11_9:                               ;   in Loop: Header=BB11_3 Depth=1
	s_mov_b32 s40, -1
                                        ; implicit-def: $vgpr6
                                        ; implicit-def: $vgpr4
.LBB11_10:                              ;   in Loop: Header=BB11_3 Depth=1
	s_delay_alu instid0(SALU_CYCLE_1)
	s_and_not1_b32 vcc_lo, exec_lo, s40
	s_cbranch_vccnz .LBB11_2
; %bb.11:                               ;   in Loop: Header=BB11_3 Depth=1
	v_mul_hi_u32 v0, v2, s6
	s_and_not1_b32 vcc_lo, exec_lo, s4
	s_delay_alu instid0(VALU_DEP_1) | instskip(NEXT) | instid1(VALU_DEP_1)
	v_add_nc_u32_e32 v0, v0, v2
	v_lshrrev_b32_e32 v5, s7, v0
	s_delay_alu instid0(VALU_DEP_1) | instskip(NEXT) | instid1(VALU_DEP_1)
	v_mul_lo_u32 v0, v5, s5
	v_sub_nc_u32_e32 v4, v2, v0
	s_delay_alu instid0(VALU_DEP_1)
	v_mul_lo_u32 v0, v4, s16
	v_mul_lo_u32 v6, v4, s17
	;; [unrolled: 1-line block ×3, first 2 shown]
	s_cbranch_vccnz .LBB11_2
; %bb.12:                               ;   in Loop: Header=BB11_3 Depth=1
	v_mul_hi_u32 v7, s9, v5
	s_delay_alu instid0(VALU_DEP_1) | instskip(NEXT) | instid1(VALU_DEP_1)
	v_add_nc_u32_e32 v7, v5, v7
	v_lshrrev_b32_e32 v7, s10, v7
	s_delay_alu instid0(VALU_DEP_1) | instskip(NEXT) | instid1(VALU_DEP_1)
	v_mul_lo_u32 v7, v7, s8
	v_sub_nc_u32_e32 v10, v5, v7
	s_delay_alu instid0(VALU_DEP_1) | instskip(NEXT) | instid1(VALU_DEP_1)
	v_mad_u64_u32 v[7:8], null, v10, s19, v[0:1]
	v_mad_u64_u32 v[8:9], null, v10, s26, v[6:7]
	;; [unrolled: 1-line block ×3, first 2 shown]
	v_mov_b32_e32 v0, v7
	s_delay_alu instid0(VALU_DEP_3) | instskip(NEXT) | instid1(VALU_DEP_3)
	v_mov_b32_e32 v6, v8
	v_mov_b32_e32 v4, v5
	s_branch .LBB11_2
.LBB11_13:
	s_nop 0
	s_sendmsg sendmsg(MSG_DEALLOC_VGPRS)
	s_endpgm
	.section	.rodata,"a",@progbits
	.p2align	6, 0x0
	.amdhsa_kernel _ZN2at6native12cross_kernelId16OffsetCalculatorILi3EjLb0EEiEEviPT_PKS4_S7_T0_T1_S9_S9_
		.amdhsa_group_segment_fixed_size 0
		.amdhsa_private_segment_fixed_size 0
		.amdhsa_kernarg_size 688
		.amdhsa_user_sgpr_count 15
		.amdhsa_user_sgpr_dispatch_ptr 0
		.amdhsa_user_sgpr_queue_ptr 0
		.amdhsa_user_sgpr_kernarg_segment_ptr 1
		.amdhsa_user_sgpr_dispatch_id 0
		.amdhsa_user_sgpr_private_segment_size 0
		.amdhsa_wavefront_size32 1
		.amdhsa_uses_dynamic_stack 0
		.amdhsa_enable_private_segment 0
		.amdhsa_system_sgpr_workgroup_id_x 1
		.amdhsa_system_sgpr_workgroup_id_y 0
		.amdhsa_system_sgpr_workgroup_id_z 0
		.amdhsa_system_sgpr_workgroup_info 0
		.amdhsa_system_vgpr_workitem_id 0
		.amdhsa_next_free_vgpr 22
		.amdhsa_next_free_sgpr 52
		.amdhsa_reserve_vcc 1
		.amdhsa_float_round_mode_32 0
		.amdhsa_float_round_mode_16_64 0
		.amdhsa_float_denorm_mode_32 3
		.amdhsa_float_denorm_mode_16_64 3
		.amdhsa_dx10_clamp 1
		.amdhsa_ieee_mode 1
		.amdhsa_fp16_overflow 0
		.amdhsa_workgroup_processor_mode 1
		.amdhsa_memory_ordered 1
		.amdhsa_forward_progress 0
		.amdhsa_shared_vgpr_count 0
		.amdhsa_exception_fp_ieee_invalid_op 0
		.amdhsa_exception_fp_denorm_src 0
		.amdhsa_exception_fp_ieee_div_zero 0
		.amdhsa_exception_fp_ieee_overflow 0
		.amdhsa_exception_fp_ieee_underflow 0
		.amdhsa_exception_fp_ieee_inexact 0
		.amdhsa_exception_int_div_zero 0
	.end_amdhsa_kernel
	.section	.text._ZN2at6native12cross_kernelId16OffsetCalculatorILi3EjLb0EEiEEviPT_PKS4_S7_T0_T1_S9_S9_,"axG",@progbits,_ZN2at6native12cross_kernelId16OffsetCalculatorILi3EjLb0EEiEEviPT_PKS4_S7_T0_T1_S9_S9_,comdat
.Lfunc_end11:
	.size	_ZN2at6native12cross_kernelId16OffsetCalculatorILi3EjLb0EEiEEviPT_PKS4_S7_T0_T1_S9_S9_, .Lfunc_end11-_ZN2at6native12cross_kernelId16OffsetCalculatorILi3EjLb0EEiEEviPT_PKS4_S7_T0_T1_S9_S9_
                                        ; -- End function
	.section	.AMDGPU.csdata,"",@progbits
; Kernel info:
; codeLenInByte = 1248
; NumSgprs: 54
; NumVgprs: 22
; ScratchSize: 0
; MemoryBound: 0
; FloatMode: 240
; IeeeMode: 1
; LDSByteSize: 0 bytes/workgroup (compile time only)
; SGPRBlocks: 6
; VGPRBlocks: 2
; NumSGPRsForWavesPerEU: 54
; NumVGPRsForWavesPerEU: 22
; Occupancy: 16
; WaveLimiterHint : 1
; COMPUTE_PGM_RSRC2:SCRATCH_EN: 0
; COMPUTE_PGM_RSRC2:USER_SGPR: 15
; COMPUTE_PGM_RSRC2:TRAP_HANDLER: 0
; COMPUTE_PGM_RSRC2:TGID_X_EN: 1
; COMPUTE_PGM_RSRC2:TGID_Y_EN: 0
; COMPUTE_PGM_RSRC2:TGID_Z_EN: 0
; COMPUTE_PGM_RSRC2:TIDIG_COMP_CNT: 0
	.section	.text._ZN2at6native12cross_kernelIf16OffsetCalculatorILi3EjLb0EElEEviPT_PKS4_S7_T0_T1_S9_S9_,"axG",@progbits,_ZN2at6native12cross_kernelIf16OffsetCalculatorILi3EjLb0EElEEviPT_PKS4_S7_T0_T1_S9_S9_,comdat
	.protected	_ZN2at6native12cross_kernelIf16OffsetCalculatorILi3EjLb0EElEEviPT_PKS4_S7_T0_T1_S9_S9_ ; -- Begin function _ZN2at6native12cross_kernelIf16OffsetCalculatorILi3EjLb0EElEEviPT_PKS4_S7_T0_T1_S9_S9_
	.globl	_ZN2at6native12cross_kernelIf16OffsetCalculatorILi3EjLb0EElEEviPT_PKS4_S7_T0_T1_S9_S9_
	.p2align	8
	.type	_ZN2at6native12cross_kernelIf16OffsetCalculatorILi3EjLb0EElEEviPT_PKS4_S7_T0_T1_S9_S9_,@function
_ZN2at6native12cross_kernelIf16OffsetCalculatorILi3EjLb0EElEEviPT_PKS4_S7_T0_T1_S9_S9_: ; @_ZN2at6native12cross_kernelIf16OffsetCalculatorILi3EjLb0EElEEviPT_PKS4_S7_T0_T1_S9_S9_
; %bb.0:
	s_clause 0x1
	s_load_b32 s2, s[0:1], 0x0
	s_load_b32 s4, s[0:1], 0x1cc
	v_mov_b32_e32 v1, 0
	s_waitcnt lgkmcnt(0)
	s_ashr_i32 s3, s2, 31
	s_add_u32 s12, s0, 0x1c0
	s_addc_u32 s13, s1, 0
	s_and_b32 s28, s4, 0xffff
	s_mov_b32 s4, exec_lo
	v_mad_u64_u32 v[2:3], null, s28, s15, v[0:1]
	s_delay_alu instid0(VALU_DEP_1)
	v_cmpx_gt_i64_e64 s[2:3], v[2:3]
	s_cbranch_execz .LBB12_13
; %bb.1:
	s_load_b256 s[4:11], s[0:1], 0x20
	s_load_b32 s29, s[12:13], 0x0
	s_clause 0x5
	s_load_b64 s[30:31], s[0:1], 0x1b8
	s_load_b128 s[12:15], s[0:1], 0x8
	s_load_b64 s[24:25], s[0:1], 0x18
	s_load_b128 s[20:23], s[0:1], 0x1a8
	s_load_b128 s[16:19], s[0:1], 0xe4
	s_load_b64 s[26:27], s[0:1], 0xf4
	s_waitcnt lgkmcnt(0)
	s_mov_b32 s11, 0
	s_add_i32 s36, s4, -1
	s_mul_i32 s33, s29, s28
	s_cmp_gt_u32 s36, 1
	s_cselect_b32 s34, -1, 0
	s_cmp_lg_u32 s4, 0
	s_cselect_b32 s35, -1, 0
	s_min_u32 s37, s36, 15
	s_cmp_gt_u32 s4, 1
	s_cselect_b32 s4, -1, 0
	s_add_i32 s36, s37, 1
	s_lshl_b64 s[28:29], s[30:31], 3
	s_and_b32 s36, s36, 30
	s_bitcmp0_b32 s37, 0
	s_cselect_b32 s37, -1, 0
	s_lshl_b64 s[30:31], s[30:31], 2
	s_lshl_b64 s[22:23], s[22:23], 2
	s_sub_u32 s38, 0, s30
	s_subb_u32 s39, 0, s31
	s_lshl_b64 s[20:21], s[20:21], 2
	s_add_u32 s30, s0, 12
	s_addc_u32 s31, s1, 0
	s_branch .LBB12_3
.LBB12_2:                               ;   in Loop: Header=BB12_3 Depth=1
	v_mov_b32_e32 v7, v1
	v_mov_b32_e32 v5, v1
	s_delay_alu instid0(VALU_DEP_2) | instskip(NEXT) | instid1(VALU_DEP_2)
	v_lshlrev_b64 v[6:7], 2, v[6:7]
	v_lshlrev_b64 v[4:5], 2, v[4:5]
	s_delay_alu instid0(VALU_DEP_2) | instskip(NEXT) | instid1(VALU_DEP_3)
	v_add_co_u32 v6, vcc_lo, s14, v6
	v_add_co_ci_u32_e32 v7, vcc_lo, s15, v7, vcc_lo
	s_delay_alu instid0(VALU_DEP_3) | instskip(NEXT) | instid1(VALU_DEP_4)
	v_add_co_u32 v4, vcc_lo, s24, v4
	v_add_co_ci_u32_e32 v5, vcc_lo, s25, v5, vcc_lo
	s_delay_alu instid0(VALU_DEP_4) | instskip(NEXT) | instid1(VALU_DEP_4)
	v_add_co_u32 v8, vcc_lo, v6, s22
	v_add_co_ci_u32_e32 v9, vcc_lo, s23, v7, vcc_lo
	s_delay_alu instid0(VALU_DEP_4) | instskip(NEXT) | instid1(VALU_DEP_4)
	v_add_co_u32 v10, vcc_lo, v4, s28
	v_add_co_ci_u32_e32 v11, vcc_lo, s29, v5, vcc_lo
	global_load_b32 v14, v[8:9], off
	v_add_co_u32 v8, vcc_lo, v8, s22
	v_add_co_ci_u32_e32 v9, vcc_lo, s23, v9, vcc_lo
	v_add_co_u32 v12, vcc_lo, v10, s38
	v_add_co_ci_u32_e32 v13, vcc_lo, s39, v11, vcc_lo
	global_load_b32 v10, v[10:11], off
	s_clause 0x1
	global_load_b32 v11, v[8:9], off
	global_load_b32 v15, v[6:7], off
	s_clause 0x1
	global_load_b32 v16, v[4:5], off
	global_load_b32 v12, v[12:13], off
	v_lshlrev_b64 v[4:5], 2, v[0:1]
	v_add_co_u32 v2, vcc_lo, v2, s33
	v_add_co_ci_u32_e32 v3, vcc_lo, 0, v3, vcc_lo
	s_delay_alu instid0(VALU_DEP_3) | instskip(NEXT) | instid1(VALU_DEP_4)
	v_add_co_u32 v4, vcc_lo, s12, v4
	v_add_co_ci_u32_e32 v5, vcc_lo, s13, v5, vcc_lo
	s_delay_alu instid0(VALU_DEP_3) | instskip(NEXT) | instid1(VALU_DEP_3)
	v_cmp_le_i64_e32 vcc_lo, s[2:3], v[2:3]
	v_add_co_u32 v6, s0, v4, s20
	s_delay_alu instid0(VALU_DEP_1) | instskip(NEXT) | instid1(VALU_DEP_2)
	v_add_co_ci_u32_e64 v7, s0, s21, v5, s0
	v_add_co_u32 v8, s0, v6, s20
	s_delay_alu instid0(VALU_DEP_1)
	v_add_co_ci_u32_e64 v9, s0, s21, v7, s0
	s_or_b32 s11, vcc_lo, s11
	s_waitcnt vmcnt(2)
	v_mul_f32_e32 v0, v10, v15
	s_waitcnt vmcnt(1)
	v_mul_f32_e32 v13, v14, v16
	;; [unrolled: 2-line block ×3, first 2 shown]
	v_fma_f32 v0, v11, v16, -v0
	s_delay_alu instid0(VALU_DEP_3) | instskip(NEXT) | instid1(VALU_DEP_3)
	v_fma_f32 v11, v12, v15, -v13
	v_fma_f32 v10, v14, v10, -v17
	s_clause 0x2
	global_store_b32 v[4:5], v10, off
	global_store_b32 v[6:7], v0, off
	;; [unrolled: 1-line block ×3, first 2 shown]
	s_and_not1_b32 exec_lo, exec_lo, s11
	s_cbranch_execz .LBB12_13
.LBB12_3:                               ; =>This Loop Header: Depth=1
                                        ;     Child Loop BB12_6 Depth 2
	s_and_not1_b32 vcc_lo, exec_lo, s34
	s_cbranch_vccnz .LBB12_9
; %bb.4:                                ;   in Loop: Header=BB12_3 Depth=1
	v_mov_b32_e32 v0, 0
	v_mov_b32_e32 v6, 0
	;; [unrolled: 1-line block ×3, first 2 shown]
	s_and_not1_b32 vcc_lo, exec_lo, s35
	s_mov_b32 s40, 0
	s_cbranch_vccnz .LBB12_10
; %bb.5:                                ;   in Loop: Header=BB12_3 Depth=1
	v_dual_mov_b32 v4, 0 :: v_dual_mov_b32 v5, v2
	v_mov_b32_e32 v6, 0
	s_mov_b32 s41, s36
	s_mov_b64 s[0:1], s[30:31]
	s_delay_alu instid0(VALU_DEP_2)
	v_mov_b32_e32 v0, v4
	s_set_inst_prefetch_distance 0x1
	.p2align	6
.LBB12_6:                               ;   Parent Loop BB12_3 Depth=1
                                        ; =>  This Inner Loop Header: Depth=2
	s_clause 0x2
	s_load_b128 s[44:47], s[0:1], 0x18
	s_load_b64 s[42:43], s[0:1], 0x28
	s_load_b128 s[48:51], s[0:1], 0xd8
	s_waitcnt lgkmcnt(0)
	v_mul_hi_u32 v7, s45, v5
	s_delay_alu instid0(VALU_DEP_1) | instskip(NEXT) | instid1(VALU_DEP_1)
	v_add_nc_u32_e32 v7, v5, v7
	v_lshrrev_b32_e32 v7, s46, v7
	s_delay_alu instid0(VALU_DEP_1)
	v_mul_hi_u32 v8, s42, v7
	v_mul_lo_u32 v9, v7, s44
	s_load_b64 s[44:45], s[0:1], 0xe8
	s_add_u32 s0, s0, 24
	s_addc_u32 s1, s1, 0
	s_add_i32 s41, s41, -2
	s_delay_alu instid0(SALU_CYCLE_1) | instskip(NEXT) | instid1(VALU_DEP_2)
	s_cmp_lg_u32 s41, 0
	v_add_nc_u32_e32 v8, v7, v8
	s_delay_alu instid0(VALU_DEP_2) | instskip(NEXT) | instid1(VALU_DEP_2)
	v_sub_nc_u32_e32 v9, v5, v9
	v_lshrrev_b32_e32 v5, s43, v8
	s_delay_alu instid0(VALU_DEP_2) | instskip(NEXT) | instid1(VALU_DEP_2)
	v_mul_lo_u32 v10, v9, s48
	v_mul_lo_u32 v8, v5, s47
	s_delay_alu instid0(VALU_DEP_1) | instskip(SKIP_2) | instid1(VALU_DEP_3)
	v_sub_nc_u32_e32 v7, v7, v8
	v_mul_lo_u32 v8, v9, s49
	v_mul_lo_u32 v9, v9, s50
	;; [unrolled: 1-line block ×3, first 2 shown]
	s_waitcnt lgkmcnt(0)
	v_mul_lo_u32 v12, v7, s44
	v_mul_lo_u32 v7, v7, s45
	s_delay_alu instid0(VALU_DEP_3) | instskip(NEXT) | instid1(VALU_DEP_3)
	v_add3_u32 v0, v10, v0, v11
	v_add3_u32 v6, v8, v6, v12
	s_delay_alu instid0(VALU_DEP_3)
	v_add3_u32 v4, v9, v4, v7
	s_cbranch_scc1 .LBB12_6
; %bb.7:                                ;   in Loop: Header=BB12_3 Depth=1
	s_set_inst_prefetch_distance 0x2
	s_and_not1_b32 vcc_lo, exec_lo, s37
	s_cbranch_vccnz .LBB12_10
; %bb.8:                                ;   in Loop: Header=BB12_3 Depth=1
	s_clause 0x3
	s_load_b64 s[42:43], s[0:1], 0x18
	s_load_b32 s41, s[0:1], 0x20
	s_load_b64 s[44:45], s[0:1], 0xd8
	s_load_b32 s0, s[0:1], 0xe0
	s_waitcnt lgkmcnt(0)
	v_mul_hi_u32 v7, s43, v5
	s_delay_alu instid0(VALU_DEP_1) | instskip(NEXT) | instid1(VALU_DEP_1)
	v_add_nc_u32_e32 v7, v5, v7
	v_lshrrev_b32_e32 v7, s41, v7
	s_delay_alu instid0(VALU_DEP_1) | instskip(NEXT) | instid1(VALU_DEP_1)
	v_mul_lo_u32 v7, v7, s42
	v_sub_nc_u32_e32 v10, v5, v7
	s_delay_alu instid0(VALU_DEP_1) | instskip(NEXT) | instid1(VALU_DEP_1)
	v_mad_u64_u32 v[7:8], null, v10, s44, v[0:1]
	v_mad_u64_u32 v[8:9], null, v10, s45, v[6:7]
	;; [unrolled: 1-line block ×3, first 2 shown]
	v_mov_b32_e32 v0, v7
	s_delay_alu instid0(VALU_DEP_3) | instskip(NEXT) | instid1(VALU_DEP_3)
	v_mov_b32_e32 v6, v8
	v_mov_b32_e32 v4, v5
	s_branch .LBB12_10
.LBB12_9:                               ;   in Loop: Header=BB12_3 Depth=1
	s_mov_b32 s40, -1
                                        ; implicit-def: $vgpr6
                                        ; implicit-def: $vgpr4
.LBB12_10:                              ;   in Loop: Header=BB12_3 Depth=1
	s_delay_alu instid0(SALU_CYCLE_1)
	s_and_not1_b32 vcc_lo, exec_lo, s40
	s_cbranch_vccnz .LBB12_2
; %bb.11:                               ;   in Loop: Header=BB12_3 Depth=1
	v_mul_hi_u32 v0, v2, s6
	s_and_not1_b32 vcc_lo, exec_lo, s4
	s_delay_alu instid0(VALU_DEP_1) | instskip(NEXT) | instid1(VALU_DEP_1)
	v_add_nc_u32_e32 v0, v0, v2
	v_lshrrev_b32_e32 v5, s7, v0
	s_delay_alu instid0(VALU_DEP_1) | instskip(NEXT) | instid1(VALU_DEP_1)
	v_mul_lo_u32 v0, v5, s5
	v_sub_nc_u32_e32 v4, v2, v0
	s_delay_alu instid0(VALU_DEP_1)
	v_mul_lo_u32 v0, v4, s16
	v_mul_lo_u32 v6, v4, s17
	;; [unrolled: 1-line block ×3, first 2 shown]
	s_cbranch_vccnz .LBB12_2
; %bb.12:                               ;   in Loop: Header=BB12_3 Depth=1
	v_mul_hi_u32 v7, s9, v5
	s_delay_alu instid0(VALU_DEP_1) | instskip(NEXT) | instid1(VALU_DEP_1)
	v_add_nc_u32_e32 v7, v5, v7
	v_lshrrev_b32_e32 v7, s10, v7
	s_delay_alu instid0(VALU_DEP_1) | instskip(NEXT) | instid1(VALU_DEP_1)
	v_mul_lo_u32 v7, v7, s8
	v_sub_nc_u32_e32 v10, v5, v7
	s_delay_alu instid0(VALU_DEP_1) | instskip(NEXT) | instid1(VALU_DEP_1)
	v_mad_u64_u32 v[7:8], null, v10, s19, v[0:1]
	v_mad_u64_u32 v[8:9], null, v10, s26, v[6:7]
	;; [unrolled: 1-line block ×3, first 2 shown]
	v_mov_b32_e32 v0, v7
	s_delay_alu instid0(VALU_DEP_3) | instskip(NEXT) | instid1(VALU_DEP_3)
	v_mov_b32_e32 v6, v8
	v_mov_b32_e32 v4, v5
	s_branch .LBB12_2
.LBB12_13:
	s_nop 0
	s_sendmsg sendmsg(MSG_DEALLOC_VGPRS)
	s_endpgm
	.section	.rodata,"a",@progbits
	.p2align	6, 0x0
	.amdhsa_kernel _ZN2at6native12cross_kernelIf16OffsetCalculatorILi3EjLb0EElEEviPT_PKS4_S7_T0_T1_S9_S9_
		.amdhsa_group_segment_fixed_size 0
		.amdhsa_private_segment_fixed_size 0
		.amdhsa_kernarg_size 704
		.amdhsa_user_sgpr_count 15
		.amdhsa_user_sgpr_dispatch_ptr 0
		.amdhsa_user_sgpr_queue_ptr 0
		.amdhsa_user_sgpr_kernarg_segment_ptr 1
		.amdhsa_user_sgpr_dispatch_id 0
		.amdhsa_user_sgpr_private_segment_size 0
		.amdhsa_wavefront_size32 1
		.amdhsa_uses_dynamic_stack 0
		.amdhsa_enable_private_segment 0
		.amdhsa_system_sgpr_workgroup_id_x 1
		.amdhsa_system_sgpr_workgroup_id_y 0
		.amdhsa_system_sgpr_workgroup_id_z 0
		.amdhsa_system_sgpr_workgroup_info 0
		.amdhsa_system_vgpr_workitem_id 0
		.amdhsa_next_free_vgpr 18
		.amdhsa_next_free_sgpr 52
		.amdhsa_reserve_vcc 1
		.amdhsa_float_round_mode_32 0
		.amdhsa_float_round_mode_16_64 0
		.amdhsa_float_denorm_mode_32 3
		.amdhsa_float_denorm_mode_16_64 3
		.amdhsa_dx10_clamp 1
		.amdhsa_ieee_mode 1
		.amdhsa_fp16_overflow 0
		.amdhsa_workgroup_processor_mode 1
		.amdhsa_memory_ordered 1
		.amdhsa_forward_progress 0
		.amdhsa_shared_vgpr_count 0
		.amdhsa_exception_fp_ieee_invalid_op 0
		.amdhsa_exception_fp_denorm_src 0
		.amdhsa_exception_fp_ieee_div_zero 0
		.amdhsa_exception_fp_ieee_overflow 0
		.amdhsa_exception_fp_ieee_underflow 0
		.amdhsa_exception_fp_ieee_inexact 0
		.amdhsa_exception_int_div_zero 0
	.end_amdhsa_kernel
	.section	.text._ZN2at6native12cross_kernelIf16OffsetCalculatorILi3EjLb0EElEEviPT_PKS4_S7_T0_T1_S9_S9_,"axG",@progbits,_ZN2at6native12cross_kernelIf16OffsetCalculatorILi3EjLb0EElEEviPT_PKS4_S7_T0_T1_S9_S9_,comdat
.Lfunc_end12:
	.size	_ZN2at6native12cross_kernelIf16OffsetCalculatorILi3EjLb0EElEEviPT_PKS4_S7_T0_T1_S9_S9_, .Lfunc_end12-_ZN2at6native12cross_kernelIf16OffsetCalculatorILi3EjLb0EElEEviPT_PKS4_S7_T0_T1_S9_S9_
                                        ; -- End function
	.section	.AMDGPU.csdata,"",@progbits
; Kernel info:
; codeLenInByte = 1200
; NumSgprs: 54
; NumVgprs: 18
; ScratchSize: 0
; MemoryBound: 0
; FloatMode: 240
; IeeeMode: 1
; LDSByteSize: 0 bytes/workgroup (compile time only)
; SGPRBlocks: 6
; VGPRBlocks: 2
; NumSGPRsForWavesPerEU: 54
; NumVGPRsForWavesPerEU: 18
; Occupancy: 16
; WaveLimiterHint : 1
; COMPUTE_PGM_RSRC2:SCRATCH_EN: 0
; COMPUTE_PGM_RSRC2:USER_SGPR: 15
; COMPUTE_PGM_RSRC2:TRAP_HANDLER: 0
; COMPUTE_PGM_RSRC2:TGID_X_EN: 1
; COMPUTE_PGM_RSRC2:TGID_Y_EN: 0
; COMPUTE_PGM_RSRC2:TGID_Z_EN: 0
; COMPUTE_PGM_RSRC2:TIDIG_COMP_CNT: 0
	.section	.text._ZN2at6native12cross_kernelIf16OffsetCalculatorILi3EjLb0EEiEEviPT_PKS4_S7_T0_T1_S9_S9_,"axG",@progbits,_ZN2at6native12cross_kernelIf16OffsetCalculatorILi3EjLb0EEiEEviPT_PKS4_S7_T0_T1_S9_S9_,comdat
	.protected	_ZN2at6native12cross_kernelIf16OffsetCalculatorILi3EjLb0EEiEEviPT_PKS4_S7_T0_T1_S9_S9_ ; -- Begin function _ZN2at6native12cross_kernelIf16OffsetCalculatorILi3EjLb0EEiEEviPT_PKS4_S7_T0_T1_S9_S9_
	.globl	_ZN2at6native12cross_kernelIf16OffsetCalculatorILi3EjLb0EEiEEviPT_PKS4_S7_T0_T1_S9_S9_
	.p2align	8
	.type	_ZN2at6native12cross_kernelIf16OffsetCalculatorILi3EjLb0EEiEEviPT_PKS4_S7_T0_T1_S9_S9_,@function
_ZN2at6native12cross_kernelIf16OffsetCalculatorILi3EjLb0EEiEEviPT_PKS4_S7_T0_T1_S9_S9_: ; @_ZN2at6native12cross_kernelIf16OffsetCalculatorILi3EjLb0EEiEEviPT_PKS4_S7_T0_T1_S9_S9_
; %bb.0:
	s_clause 0x1
	s_load_b32 s2, s[0:1], 0x0
	s_load_b32 s4, s[0:1], 0x1bc
	v_mov_b32_e32 v1, 0
	s_waitcnt lgkmcnt(0)
	s_ashr_i32 s3, s2, 31
	s_add_u32 s12, s0, 0x1b0
	s_addc_u32 s13, s1, 0
	s_and_b32 s28, s4, 0xffff
	s_mov_b32 s4, exec_lo
	v_mad_u64_u32 v[2:3], null, s28, s15, v[0:1]
	s_delay_alu instid0(VALU_DEP_1)
	v_cmpx_gt_i64_e64 s[2:3], v[2:3]
	s_cbranch_execz .LBB13_13
; %bb.1:
	s_clause 0x1
	s_load_b256 s[4:11], s[0:1], 0x20
	s_load_b128 s[20:23], s[0:1], 0x1a4
	s_waitcnt lgkmcnt(0)
	s_load_b32 s23, s[12:13], 0x0
	s_clause 0x3
	s_load_b128 s[12:15], s[0:1], 0x8
	s_load_b64 s[24:25], s[0:1], 0x18
	s_load_b128 s[16:19], s[0:1], 0xe4
	s_load_b64 s[26:27], s[0:1], 0xf4
	s_mov_b32 s11, 0
	s_add_i32 s29, s4, -1
	s_waitcnt lgkmcnt(0)
	s_mul_i32 s33, s23, s28
	s_cmp_gt_u32 s29, 1
	s_mov_b32 s30, s21
	s_cselect_b32 s34, -1, 0
	s_cmp_lg_u32 s4, 0
	s_cselect_b32 s35, -1, 0
	s_min_u32 s23, s29, 15
	s_cmp_gt_u32 s4, 1
	s_cselect_b32 s4, -1, 0
	s_lshl_b32 s40, s22, 1
	s_add_i32 s28, s23, 1
	s_ashr_i32 s31, s21, 31
	s_ashr_i32 s21, s20, 31
	;; [unrolled: 1-line block ×3, first 2 shown]
	s_and_b32 s36, s28, 30
	s_bitcmp0_b32 s23, 0
	s_cselect_b32 s37, -1, 0
	s_ashr_i32 s23, s22, 31
	s_lshl_b64 s[28:29], s[30:31], 2
	s_lshl_b64 s[22:23], s[22:23], 2
	s_delay_alu instid0(SALU_CYCLE_1)
	s_sub_u32 s38, 0, s22
	s_subb_u32 s39, 0, s23
	s_lshl_b64 s[20:21], s[20:21], 2
	s_add_u32 s22, s0, 12
	s_addc_u32 s23, s1, 0
	s_lshl_b64 s[30:31], s[40:41], 2
	s_branch .LBB13_3
.LBB13_2:                               ;   in Loop: Header=BB13_3 Depth=1
	v_mov_b32_e32 v7, v1
	v_mov_b32_e32 v5, v1
	s_delay_alu instid0(VALU_DEP_2) | instskip(NEXT) | instid1(VALU_DEP_2)
	v_lshlrev_b64 v[6:7], 2, v[6:7]
	v_lshlrev_b64 v[4:5], 2, v[4:5]
	s_delay_alu instid0(VALU_DEP_2) | instskip(NEXT) | instid1(VALU_DEP_3)
	v_add_co_u32 v6, vcc_lo, s14, v6
	v_add_co_ci_u32_e32 v7, vcc_lo, s15, v7, vcc_lo
	s_delay_alu instid0(VALU_DEP_3) | instskip(NEXT) | instid1(VALU_DEP_4)
	v_add_co_u32 v4, vcc_lo, s24, v4
	v_add_co_ci_u32_e32 v5, vcc_lo, s25, v5, vcc_lo
	s_delay_alu instid0(VALU_DEP_4) | instskip(NEXT) | instid1(VALU_DEP_4)
	v_add_co_u32 v8, vcc_lo, v6, s28
	v_add_co_ci_u32_e32 v9, vcc_lo, s29, v7, vcc_lo
	s_delay_alu instid0(VALU_DEP_4) | instskip(NEXT) | instid1(VALU_DEP_4)
	v_add_co_u32 v10, vcc_lo, v4, s30
	v_add_co_ci_u32_e32 v11, vcc_lo, s31, v5, vcc_lo
	global_load_b32 v14, v[8:9], off
	v_add_co_u32 v8, vcc_lo, v8, s28
	v_add_co_ci_u32_e32 v9, vcc_lo, s29, v9, vcc_lo
	v_add_co_u32 v12, vcc_lo, v10, s38
	v_add_co_ci_u32_e32 v13, vcc_lo, s39, v11, vcc_lo
	global_load_b32 v10, v[10:11], off
	s_clause 0x1
	global_load_b32 v11, v[8:9], off
	global_load_b32 v15, v[6:7], off
	s_clause 0x1
	global_load_b32 v16, v[4:5], off
	global_load_b32 v12, v[12:13], off
	v_lshlrev_b64 v[4:5], 2, v[0:1]
	v_add_co_u32 v2, vcc_lo, v2, s33
	v_add_co_ci_u32_e32 v3, vcc_lo, 0, v3, vcc_lo
	s_delay_alu instid0(VALU_DEP_3) | instskip(NEXT) | instid1(VALU_DEP_4)
	v_add_co_u32 v4, vcc_lo, s12, v4
	v_add_co_ci_u32_e32 v5, vcc_lo, s13, v5, vcc_lo
	s_delay_alu instid0(VALU_DEP_3) | instskip(NEXT) | instid1(VALU_DEP_3)
	v_cmp_le_i64_e32 vcc_lo, s[2:3], v[2:3]
	v_add_co_u32 v6, s0, v4, s20
	s_delay_alu instid0(VALU_DEP_1) | instskip(NEXT) | instid1(VALU_DEP_2)
	v_add_co_ci_u32_e64 v7, s0, s21, v5, s0
	v_add_co_u32 v8, s0, v6, s20
	s_delay_alu instid0(VALU_DEP_1)
	v_add_co_ci_u32_e64 v9, s0, s21, v7, s0
	s_or_b32 s11, vcc_lo, s11
	s_waitcnt vmcnt(2)
	v_mul_f32_e32 v0, v10, v15
	s_waitcnt vmcnt(1)
	v_mul_f32_e32 v13, v14, v16
	;; [unrolled: 2-line block ×3, first 2 shown]
	v_fma_f32 v0, v11, v16, -v0
	s_delay_alu instid0(VALU_DEP_3) | instskip(NEXT) | instid1(VALU_DEP_3)
	v_fma_f32 v11, v12, v15, -v13
	v_fma_f32 v10, v14, v10, -v17
	s_clause 0x2
	global_store_b32 v[4:5], v10, off
	global_store_b32 v[6:7], v0, off
	;; [unrolled: 1-line block ×3, first 2 shown]
	s_and_not1_b32 exec_lo, exec_lo, s11
	s_cbranch_execz .LBB13_13
.LBB13_3:                               ; =>This Loop Header: Depth=1
                                        ;     Child Loop BB13_6 Depth 2
	s_and_not1_b32 vcc_lo, exec_lo, s34
	s_cbranch_vccnz .LBB13_9
; %bb.4:                                ;   in Loop: Header=BB13_3 Depth=1
	v_mov_b32_e32 v0, 0
	v_mov_b32_e32 v6, 0
	;; [unrolled: 1-line block ×3, first 2 shown]
	s_and_not1_b32 vcc_lo, exec_lo, s35
	s_mov_b32 s40, 0
	s_cbranch_vccnz .LBB13_10
; %bb.5:                                ;   in Loop: Header=BB13_3 Depth=1
	v_dual_mov_b32 v4, 0 :: v_dual_mov_b32 v5, v2
	v_mov_b32_e32 v6, 0
	s_mov_b32 s41, s36
	s_mov_b64 s[0:1], s[22:23]
	s_delay_alu instid0(VALU_DEP_2)
	v_mov_b32_e32 v0, v4
	s_set_inst_prefetch_distance 0x1
	.p2align	6
.LBB13_6:                               ;   Parent Loop BB13_3 Depth=1
                                        ; =>  This Inner Loop Header: Depth=2
	s_clause 0x2
	s_load_b128 s[44:47], s[0:1], 0x18
	s_load_b64 s[42:43], s[0:1], 0x28
	s_load_b128 s[48:51], s[0:1], 0xd8
	s_waitcnt lgkmcnt(0)
	v_mul_hi_u32 v7, s45, v5
	s_delay_alu instid0(VALU_DEP_1) | instskip(NEXT) | instid1(VALU_DEP_1)
	v_add_nc_u32_e32 v7, v5, v7
	v_lshrrev_b32_e32 v7, s46, v7
	s_delay_alu instid0(VALU_DEP_1)
	v_mul_hi_u32 v8, s42, v7
	v_mul_lo_u32 v9, v7, s44
	s_load_b64 s[44:45], s[0:1], 0xe8
	s_add_u32 s0, s0, 24
	s_addc_u32 s1, s1, 0
	s_add_i32 s41, s41, -2
	s_delay_alu instid0(SALU_CYCLE_1) | instskip(NEXT) | instid1(VALU_DEP_2)
	s_cmp_lg_u32 s41, 0
	v_add_nc_u32_e32 v8, v7, v8
	s_delay_alu instid0(VALU_DEP_2) | instskip(NEXT) | instid1(VALU_DEP_2)
	v_sub_nc_u32_e32 v9, v5, v9
	v_lshrrev_b32_e32 v5, s43, v8
	s_delay_alu instid0(VALU_DEP_2) | instskip(NEXT) | instid1(VALU_DEP_2)
	v_mul_lo_u32 v10, v9, s48
	v_mul_lo_u32 v8, v5, s47
	s_delay_alu instid0(VALU_DEP_1) | instskip(SKIP_2) | instid1(VALU_DEP_3)
	v_sub_nc_u32_e32 v7, v7, v8
	v_mul_lo_u32 v8, v9, s49
	v_mul_lo_u32 v9, v9, s50
	;; [unrolled: 1-line block ×3, first 2 shown]
	s_waitcnt lgkmcnt(0)
	v_mul_lo_u32 v12, v7, s44
	v_mul_lo_u32 v7, v7, s45
	s_delay_alu instid0(VALU_DEP_3) | instskip(NEXT) | instid1(VALU_DEP_3)
	v_add3_u32 v0, v10, v0, v11
	v_add3_u32 v6, v8, v6, v12
	s_delay_alu instid0(VALU_DEP_3)
	v_add3_u32 v4, v9, v4, v7
	s_cbranch_scc1 .LBB13_6
; %bb.7:                                ;   in Loop: Header=BB13_3 Depth=1
	s_set_inst_prefetch_distance 0x2
	s_and_not1_b32 vcc_lo, exec_lo, s37
	s_cbranch_vccnz .LBB13_10
; %bb.8:                                ;   in Loop: Header=BB13_3 Depth=1
	s_clause 0x3
	s_load_b64 s[42:43], s[0:1], 0x18
	s_load_b32 s41, s[0:1], 0x20
	s_load_b64 s[44:45], s[0:1], 0xd8
	s_load_b32 s0, s[0:1], 0xe0
	s_waitcnt lgkmcnt(0)
	v_mul_hi_u32 v7, s43, v5
	s_delay_alu instid0(VALU_DEP_1) | instskip(NEXT) | instid1(VALU_DEP_1)
	v_add_nc_u32_e32 v7, v5, v7
	v_lshrrev_b32_e32 v7, s41, v7
	s_delay_alu instid0(VALU_DEP_1) | instskip(NEXT) | instid1(VALU_DEP_1)
	v_mul_lo_u32 v7, v7, s42
	v_sub_nc_u32_e32 v10, v5, v7
	s_delay_alu instid0(VALU_DEP_1) | instskip(NEXT) | instid1(VALU_DEP_1)
	v_mad_u64_u32 v[7:8], null, v10, s44, v[0:1]
	v_mad_u64_u32 v[8:9], null, v10, s45, v[6:7]
	;; [unrolled: 1-line block ×3, first 2 shown]
	v_mov_b32_e32 v0, v7
	s_delay_alu instid0(VALU_DEP_3) | instskip(NEXT) | instid1(VALU_DEP_3)
	v_mov_b32_e32 v6, v8
	v_mov_b32_e32 v4, v5
	s_branch .LBB13_10
.LBB13_9:                               ;   in Loop: Header=BB13_3 Depth=1
	s_mov_b32 s40, -1
                                        ; implicit-def: $vgpr6
                                        ; implicit-def: $vgpr4
.LBB13_10:                              ;   in Loop: Header=BB13_3 Depth=1
	s_delay_alu instid0(SALU_CYCLE_1)
	s_and_not1_b32 vcc_lo, exec_lo, s40
	s_cbranch_vccnz .LBB13_2
; %bb.11:                               ;   in Loop: Header=BB13_3 Depth=1
	v_mul_hi_u32 v0, v2, s6
	s_and_not1_b32 vcc_lo, exec_lo, s4
	s_delay_alu instid0(VALU_DEP_1) | instskip(NEXT) | instid1(VALU_DEP_1)
	v_add_nc_u32_e32 v0, v0, v2
	v_lshrrev_b32_e32 v5, s7, v0
	s_delay_alu instid0(VALU_DEP_1) | instskip(NEXT) | instid1(VALU_DEP_1)
	v_mul_lo_u32 v0, v5, s5
	v_sub_nc_u32_e32 v4, v2, v0
	s_delay_alu instid0(VALU_DEP_1)
	v_mul_lo_u32 v0, v4, s16
	v_mul_lo_u32 v6, v4, s17
	;; [unrolled: 1-line block ×3, first 2 shown]
	s_cbranch_vccnz .LBB13_2
; %bb.12:                               ;   in Loop: Header=BB13_3 Depth=1
	v_mul_hi_u32 v7, s9, v5
	s_delay_alu instid0(VALU_DEP_1) | instskip(NEXT) | instid1(VALU_DEP_1)
	v_add_nc_u32_e32 v7, v5, v7
	v_lshrrev_b32_e32 v7, s10, v7
	s_delay_alu instid0(VALU_DEP_1) | instskip(NEXT) | instid1(VALU_DEP_1)
	v_mul_lo_u32 v7, v7, s8
	v_sub_nc_u32_e32 v10, v5, v7
	s_delay_alu instid0(VALU_DEP_1) | instskip(NEXT) | instid1(VALU_DEP_1)
	v_mad_u64_u32 v[7:8], null, v10, s19, v[0:1]
	v_mad_u64_u32 v[8:9], null, v10, s26, v[6:7]
	v_mad_u64_u32 v[5:6], null, v10, s27, v[4:5]
	v_mov_b32_e32 v0, v7
	s_delay_alu instid0(VALU_DEP_3) | instskip(NEXT) | instid1(VALU_DEP_3)
	v_mov_b32_e32 v6, v8
	v_mov_b32_e32 v4, v5
	s_branch .LBB13_2
.LBB13_13:
	s_nop 0
	s_sendmsg sendmsg(MSG_DEALLOC_VGPRS)
	s_endpgm
	.section	.rodata,"a",@progbits
	.p2align	6, 0x0
	.amdhsa_kernel _ZN2at6native12cross_kernelIf16OffsetCalculatorILi3EjLb0EEiEEviPT_PKS4_S7_T0_T1_S9_S9_
		.amdhsa_group_segment_fixed_size 0
		.amdhsa_private_segment_fixed_size 0
		.amdhsa_kernarg_size 688
		.amdhsa_user_sgpr_count 15
		.amdhsa_user_sgpr_dispatch_ptr 0
		.amdhsa_user_sgpr_queue_ptr 0
		.amdhsa_user_sgpr_kernarg_segment_ptr 1
		.amdhsa_user_sgpr_dispatch_id 0
		.amdhsa_user_sgpr_private_segment_size 0
		.amdhsa_wavefront_size32 1
		.amdhsa_uses_dynamic_stack 0
		.amdhsa_enable_private_segment 0
		.amdhsa_system_sgpr_workgroup_id_x 1
		.amdhsa_system_sgpr_workgroup_id_y 0
		.amdhsa_system_sgpr_workgroup_id_z 0
		.amdhsa_system_sgpr_workgroup_info 0
		.amdhsa_system_vgpr_workitem_id 0
		.amdhsa_next_free_vgpr 18
		.amdhsa_next_free_sgpr 52
		.amdhsa_reserve_vcc 1
		.amdhsa_float_round_mode_32 0
		.amdhsa_float_round_mode_16_64 0
		.amdhsa_float_denorm_mode_32 3
		.amdhsa_float_denorm_mode_16_64 3
		.amdhsa_dx10_clamp 1
		.amdhsa_ieee_mode 1
		.amdhsa_fp16_overflow 0
		.amdhsa_workgroup_processor_mode 1
		.amdhsa_memory_ordered 1
		.amdhsa_forward_progress 0
		.amdhsa_shared_vgpr_count 0
		.amdhsa_exception_fp_ieee_invalid_op 0
		.amdhsa_exception_fp_denorm_src 0
		.amdhsa_exception_fp_ieee_div_zero 0
		.amdhsa_exception_fp_ieee_overflow 0
		.amdhsa_exception_fp_ieee_underflow 0
		.amdhsa_exception_fp_ieee_inexact 0
		.amdhsa_exception_int_div_zero 0
	.end_amdhsa_kernel
	.section	.text._ZN2at6native12cross_kernelIf16OffsetCalculatorILi3EjLb0EEiEEviPT_PKS4_S7_T0_T1_S9_S9_,"axG",@progbits,_ZN2at6native12cross_kernelIf16OffsetCalculatorILi3EjLb0EEiEEviPT_PKS4_S7_T0_T1_S9_S9_,comdat
.Lfunc_end13:
	.size	_ZN2at6native12cross_kernelIf16OffsetCalculatorILi3EjLb0EEiEEviPT_PKS4_S7_T0_T1_S9_S9_, .Lfunc_end13-_ZN2at6native12cross_kernelIf16OffsetCalculatorILi3EjLb0EEiEEviPT_PKS4_S7_T0_T1_S9_S9_
                                        ; -- End function
	.section	.AMDGPU.csdata,"",@progbits
; Kernel info:
; codeLenInByte = 1228
; NumSgprs: 54
; NumVgprs: 18
; ScratchSize: 0
; MemoryBound: 0
; FloatMode: 240
; IeeeMode: 1
; LDSByteSize: 0 bytes/workgroup (compile time only)
; SGPRBlocks: 6
; VGPRBlocks: 2
; NumSGPRsForWavesPerEU: 54
; NumVGPRsForWavesPerEU: 18
; Occupancy: 16
; WaveLimiterHint : 1
; COMPUTE_PGM_RSRC2:SCRATCH_EN: 0
; COMPUTE_PGM_RSRC2:USER_SGPR: 15
; COMPUTE_PGM_RSRC2:TRAP_HANDLER: 0
; COMPUTE_PGM_RSRC2:TGID_X_EN: 1
; COMPUTE_PGM_RSRC2:TGID_Y_EN: 0
; COMPUTE_PGM_RSRC2:TGID_Z_EN: 0
; COMPUTE_PGM_RSRC2:TIDIG_COMP_CNT: 0
	.section	.text._ZN2at6native12cross_kernelIN3c107complexIdEE16OffsetCalculatorILi3EjLb0EElEEviPT_PKS7_SA_T0_T1_SC_SC_,"axG",@progbits,_ZN2at6native12cross_kernelIN3c107complexIdEE16OffsetCalculatorILi3EjLb0EElEEviPT_PKS7_SA_T0_T1_SC_SC_,comdat
	.protected	_ZN2at6native12cross_kernelIN3c107complexIdEE16OffsetCalculatorILi3EjLb0EElEEviPT_PKS7_SA_T0_T1_SC_SC_ ; -- Begin function _ZN2at6native12cross_kernelIN3c107complexIdEE16OffsetCalculatorILi3EjLb0EElEEviPT_PKS7_SA_T0_T1_SC_SC_
	.globl	_ZN2at6native12cross_kernelIN3c107complexIdEE16OffsetCalculatorILi3EjLb0EElEEviPT_PKS7_SA_T0_T1_SC_SC_
	.p2align	8
	.type	_ZN2at6native12cross_kernelIN3c107complexIdEE16OffsetCalculatorILi3EjLb0EElEEviPT_PKS7_SA_T0_T1_SC_SC_,@function
_ZN2at6native12cross_kernelIN3c107complexIdEE16OffsetCalculatorILi3EjLb0EElEEviPT_PKS7_SA_T0_T1_SC_SC_: ; @_ZN2at6native12cross_kernelIN3c107complexIdEE16OffsetCalculatorILi3EjLb0EElEEviPT_PKS7_SA_T0_T1_SC_SC_
; %bb.0:
	s_clause 0x1
	s_load_b32 s2, s[0:1], 0x0
	s_load_b32 s4, s[0:1], 0x1cc
	v_mov_b32_e32 v1, 0
	s_waitcnt lgkmcnt(0)
	s_ashr_i32 s3, s2, 31
	s_add_u32 s12, s0, 0x1c0
	s_addc_u32 s13, s1, 0
	s_and_b32 s28, s4, 0xffff
	s_mov_b32 s4, exec_lo
	v_mad_u64_u32 v[2:3], null, s28, s15, v[0:1]
	s_delay_alu instid0(VALU_DEP_1)
	v_cmpx_gt_i64_e64 s[2:3], v[2:3]
	s_cbranch_execz .LBB14_13
; %bb.1:
	s_load_b256 s[4:11], s[0:1], 0x20
	s_load_b32 s29, s[12:13], 0x0
	s_clause 0x5
	s_load_b64 s[30:31], s[0:1], 0x1b8
	s_load_b128 s[12:15], s[0:1], 0x8
	s_load_b64 s[24:25], s[0:1], 0x18
	s_load_b128 s[20:23], s[0:1], 0x1a8
	s_load_b128 s[16:19], s[0:1], 0xe4
	s_load_b64 s[26:27], s[0:1], 0xf4
	s_waitcnt lgkmcnt(0)
	s_mov_b32 s11, 0
	s_add_i32 s36, s4, -1
	s_mul_i32 s33, s29, s28
	s_cmp_gt_u32 s36, 1
	s_cselect_b32 s34, -1, 0
	s_cmp_lg_u32 s4, 0
	s_cselect_b32 s35, -1, 0
	s_min_u32 s37, s36, 15
	s_cmp_gt_u32 s4, 1
	s_cselect_b32 s4, -1, 0
	s_add_i32 s36, s37, 1
	s_lshl_b64 s[28:29], s[30:31], 5
	s_and_b32 s36, s36, 30
	s_bitcmp0_b32 s37, 0
	s_cselect_b32 s37, -1, 0
	s_lshl_b64 s[30:31], s[30:31], 4
	s_lshl_b64 s[22:23], s[22:23], 4
	s_sub_u32 s38, 0, s30
	s_subb_u32 s39, 0, s31
	s_lshl_b64 s[20:21], s[20:21], 4
	s_add_u32 s30, s0, 12
	s_addc_u32 s31, s1, 0
	s_branch .LBB14_3
.LBB14_2:                               ;   in Loop: Header=BB14_3 Depth=1
	v_mov_b32_e32 v5, v1
	v_mov_b32_e32 v7, v1
	s_delay_alu instid0(VALU_DEP_2) | instskip(NEXT) | instid1(VALU_DEP_2)
	v_lshlrev_b64 v[4:5], 4, v[4:5]
	v_lshlrev_b64 v[6:7], 4, v[6:7]
	s_delay_alu instid0(VALU_DEP_2) | instskip(NEXT) | instid1(VALU_DEP_3)
	v_add_co_u32 v16, vcc_lo, s24, v4
	v_add_co_ci_u32_e32 v17, vcc_lo, s25, v5, vcc_lo
	s_delay_alu instid0(VALU_DEP_3) | instskip(NEXT) | instid1(VALU_DEP_4)
	v_add_co_u32 v12, vcc_lo, s14, v6
	v_add_co_ci_u32_e32 v13, vcc_lo, s15, v7, vcc_lo
	s_delay_alu instid0(VALU_DEP_4) | instskip(NEXT) | instid1(VALU_DEP_4)
	v_add_co_u32 v14, vcc_lo, v16, s28
	v_add_co_ci_u32_e32 v15, vcc_lo, s29, v17, vcc_lo
	s_delay_alu instid0(VALU_DEP_4) | instskip(NEXT) | instid1(VALU_DEP_4)
	v_add_co_u32 v18, vcc_lo, v12, s22
	v_add_co_ci_u32_e32 v19, vcc_lo, s23, v13, vcc_lo
	s_delay_alu instid0(VALU_DEP_4) | instskip(NEXT) | instid1(VALU_DEP_4)
	v_add_co_u32 v20, vcc_lo, v14, s38
	v_add_co_ci_u32_e32 v21, vcc_lo, s39, v15, vcc_lo
	s_delay_alu instid0(VALU_DEP_4) | instskip(NEXT) | instid1(VALU_DEP_4)
	v_add_co_u32 v24, vcc_lo, v18, s22
	v_add_co_ci_u32_e32 v25, vcc_lo, s23, v19, vcc_lo
	global_load_b128 v[4:7], v[14:15], off
	s_clause 0x1
	global_load_b128 v[8:11], v[18:19], off
	global_load_b128 v[12:15], v[12:13], off
	s_clause 0x1
	global_load_b128 v[16:19], v[16:17], off
	global_load_b128 v[20:23], v[20:21], off
	;; [unrolled: 1-line block ×3, first 2 shown]
	s_waitcnt vmcnt(3)
	v_mul_f64 v[32:33], v[6:7], v[14:15]
	v_mul_f64 v[28:29], v[6:7], v[10:11]
	;; [unrolled: 1-line block ×4, first 2 shown]
	s_waitcnt vmcnt(0)
	v_mul_f64 v[40:41], v[22:23], v[26:27]
	v_mul_f64 v[42:43], v[20:21], v[26:27]
	;; [unrolled: 1-line block ×8, first 2 shown]
	v_fma_f64 v[32:33], v[4:5], v[12:13], -v[32:33]
	v_fma_f64 v[28:29], v[4:5], v[8:9], -v[28:29]
	v_fma_f64 v[30:31], v[6:7], v[8:9], v[30:31]
	v_fma_f64 v[34:35], v[6:7], v[12:13], v[34:35]
	v_fma_f64 v[4:5], v[20:21], v[24:25], -v[40:41]
	v_fma_f64 v[6:7], v[22:23], v[24:25], v[42:43]
	v_fma_f64 v[36:37], v[8:9], v[16:17], -v[36:37]
	;; [unrolled: 2-line block ×4, first 2 shown]
	v_fma_f64 v[14:15], v[22:23], v[12:13], v[14:15]
	v_add_f64 v[4:5], v[28:29], -v[4:5]
	v_add_f64 v[6:7], v[30:31], -v[6:7]
	;; [unrolled: 1-line block ×6, first 2 shown]
	v_lshlrev_b64 v[16:17], 4, v[0:1]
	s_delay_alu instid0(VALU_DEP_1) | instskip(NEXT) | instid1(VALU_DEP_2)
	v_add_co_u32 v16, vcc_lo, s12, v16
	v_add_co_ci_u32_e32 v17, vcc_lo, s13, v17, vcc_lo
	v_add_co_u32 v2, vcc_lo, v2, s33
	v_add_co_ci_u32_e32 v3, vcc_lo, 0, v3, vcc_lo
	s_delay_alu instid0(VALU_DEP_4) | instskip(NEXT) | instid1(VALU_DEP_4)
	v_add_co_u32 v18, vcc_lo, v16, s20
	v_add_co_ci_u32_e32 v19, vcc_lo, s21, v17, vcc_lo
	s_delay_alu instid0(VALU_DEP_3) | instskip(NEXT) | instid1(VALU_DEP_3)
	v_cmp_le_i64_e32 vcc_lo, s[2:3], v[2:3]
	v_add_co_u32 v20, s0, v18, s20
	s_delay_alu instid0(VALU_DEP_1)
	v_add_co_ci_u32_e64 v21, s0, s21, v19, s0
	s_clause 0x2
	global_store_b128 v[16:17], v[4:7], off
	global_store_b128 v[18:19], v[8:11], off
	;; [unrolled: 1-line block ×3, first 2 shown]
	s_or_b32 s11, vcc_lo, s11
	s_delay_alu instid0(SALU_CYCLE_1)
	s_and_not1_b32 exec_lo, exec_lo, s11
	s_cbranch_execz .LBB14_13
.LBB14_3:                               ; =>This Loop Header: Depth=1
                                        ;     Child Loop BB14_6 Depth 2
	s_and_not1_b32 vcc_lo, exec_lo, s34
	s_cbranch_vccnz .LBB14_9
; %bb.4:                                ;   in Loop: Header=BB14_3 Depth=1
	v_mov_b32_e32 v0, 0
	v_mov_b32_e32 v6, 0
	;; [unrolled: 1-line block ×3, first 2 shown]
	s_and_not1_b32 vcc_lo, exec_lo, s35
	s_mov_b32 s40, 0
	s_cbranch_vccnz .LBB14_10
; %bb.5:                                ;   in Loop: Header=BB14_3 Depth=1
	v_dual_mov_b32 v4, 0 :: v_dual_mov_b32 v5, v2
	v_mov_b32_e32 v6, 0
	s_mov_b32 s41, s36
	s_mov_b64 s[0:1], s[30:31]
	s_delay_alu instid0(VALU_DEP_2)
	v_mov_b32_e32 v0, v4
	s_set_inst_prefetch_distance 0x1
	.p2align	6
.LBB14_6:                               ;   Parent Loop BB14_3 Depth=1
                                        ; =>  This Inner Loop Header: Depth=2
	s_clause 0x2
	s_load_b128 s[44:47], s[0:1], 0x18
	s_load_b64 s[42:43], s[0:1], 0x28
	s_load_b128 s[48:51], s[0:1], 0xd8
	s_waitcnt lgkmcnt(0)
	v_mul_hi_u32 v7, s45, v5
	s_delay_alu instid0(VALU_DEP_1) | instskip(NEXT) | instid1(VALU_DEP_1)
	v_add_nc_u32_e32 v7, v5, v7
	v_lshrrev_b32_e32 v7, s46, v7
	s_delay_alu instid0(VALU_DEP_1)
	v_mul_hi_u32 v8, s42, v7
	v_mul_lo_u32 v9, v7, s44
	s_load_b64 s[44:45], s[0:1], 0xe8
	s_add_u32 s0, s0, 24
	s_addc_u32 s1, s1, 0
	s_add_i32 s41, s41, -2
	s_delay_alu instid0(SALU_CYCLE_1) | instskip(NEXT) | instid1(VALU_DEP_2)
	s_cmp_lg_u32 s41, 0
	v_add_nc_u32_e32 v8, v7, v8
	s_delay_alu instid0(VALU_DEP_2) | instskip(NEXT) | instid1(VALU_DEP_2)
	v_sub_nc_u32_e32 v9, v5, v9
	v_lshrrev_b32_e32 v5, s43, v8
	s_delay_alu instid0(VALU_DEP_2) | instskip(NEXT) | instid1(VALU_DEP_2)
	v_mul_lo_u32 v10, v9, s48
	v_mul_lo_u32 v8, v5, s47
	s_delay_alu instid0(VALU_DEP_1) | instskip(SKIP_2) | instid1(VALU_DEP_3)
	v_sub_nc_u32_e32 v7, v7, v8
	v_mul_lo_u32 v8, v9, s49
	v_mul_lo_u32 v9, v9, s50
	;; [unrolled: 1-line block ×3, first 2 shown]
	s_waitcnt lgkmcnt(0)
	v_mul_lo_u32 v12, v7, s44
	v_mul_lo_u32 v7, v7, s45
	s_delay_alu instid0(VALU_DEP_3) | instskip(NEXT) | instid1(VALU_DEP_3)
	v_add3_u32 v0, v10, v0, v11
	v_add3_u32 v6, v8, v6, v12
	s_delay_alu instid0(VALU_DEP_3)
	v_add3_u32 v4, v9, v4, v7
	s_cbranch_scc1 .LBB14_6
; %bb.7:                                ;   in Loop: Header=BB14_3 Depth=1
	s_set_inst_prefetch_distance 0x2
	s_and_not1_b32 vcc_lo, exec_lo, s37
	s_cbranch_vccnz .LBB14_10
; %bb.8:                                ;   in Loop: Header=BB14_3 Depth=1
	s_clause 0x3
	s_load_b64 s[42:43], s[0:1], 0x18
	s_load_b32 s41, s[0:1], 0x20
	s_load_b64 s[44:45], s[0:1], 0xd8
	s_load_b32 s0, s[0:1], 0xe0
	s_waitcnt lgkmcnt(0)
	v_mul_hi_u32 v7, s43, v5
	s_delay_alu instid0(VALU_DEP_1) | instskip(NEXT) | instid1(VALU_DEP_1)
	v_add_nc_u32_e32 v7, v5, v7
	v_lshrrev_b32_e32 v7, s41, v7
	s_delay_alu instid0(VALU_DEP_1) | instskip(NEXT) | instid1(VALU_DEP_1)
	v_mul_lo_u32 v7, v7, s42
	v_sub_nc_u32_e32 v10, v5, v7
	s_delay_alu instid0(VALU_DEP_1) | instskip(NEXT) | instid1(VALU_DEP_1)
	v_mad_u64_u32 v[7:8], null, v10, s44, v[0:1]
	v_mad_u64_u32 v[8:9], null, v10, s45, v[6:7]
	;; [unrolled: 1-line block ×3, first 2 shown]
	v_mov_b32_e32 v0, v7
	s_delay_alu instid0(VALU_DEP_3) | instskip(NEXT) | instid1(VALU_DEP_3)
	v_mov_b32_e32 v6, v8
	v_mov_b32_e32 v4, v5
	s_branch .LBB14_10
.LBB14_9:                               ;   in Loop: Header=BB14_3 Depth=1
	s_mov_b32 s40, -1
                                        ; implicit-def: $vgpr6
                                        ; implicit-def: $vgpr4
.LBB14_10:                              ;   in Loop: Header=BB14_3 Depth=1
	s_delay_alu instid0(SALU_CYCLE_1)
	s_and_not1_b32 vcc_lo, exec_lo, s40
	s_cbranch_vccnz .LBB14_2
; %bb.11:                               ;   in Loop: Header=BB14_3 Depth=1
	v_mul_hi_u32 v0, v2, s6
	s_and_not1_b32 vcc_lo, exec_lo, s4
	s_delay_alu instid0(VALU_DEP_1) | instskip(NEXT) | instid1(VALU_DEP_1)
	v_add_nc_u32_e32 v0, v0, v2
	v_lshrrev_b32_e32 v5, s7, v0
	s_delay_alu instid0(VALU_DEP_1) | instskip(NEXT) | instid1(VALU_DEP_1)
	v_mul_lo_u32 v0, v5, s5
	v_sub_nc_u32_e32 v4, v2, v0
	s_delay_alu instid0(VALU_DEP_1)
	v_mul_lo_u32 v0, v4, s16
	v_mul_lo_u32 v6, v4, s17
	;; [unrolled: 1-line block ×3, first 2 shown]
	s_cbranch_vccnz .LBB14_2
; %bb.12:                               ;   in Loop: Header=BB14_3 Depth=1
	v_mul_hi_u32 v7, s9, v5
	s_delay_alu instid0(VALU_DEP_1) | instskip(NEXT) | instid1(VALU_DEP_1)
	v_add_nc_u32_e32 v7, v5, v7
	v_lshrrev_b32_e32 v7, s10, v7
	s_delay_alu instid0(VALU_DEP_1) | instskip(NEXT) | instid1(VALU_DEP_1)
	v_mul_lo_u32 v7, v7, s8
	v_sub_nc_u32_e32 v10, v5, v7
	s_delay_alu instid0(VALU_DEP_1) | instskip(NEXT) | instid1(VALU_DEP_1)
	v_mad_u64_u32 v[7:8], null, v10, s19, v[0:1]
	v_mad_u64_u32 v[8:9], null, v10, s26, v[6:7]
	;; [unrolled: 1-line block ×3, first 2 shown]
	v_mov_b32_e32 v0, v7
	s_delay_alu instid0(VALU_DEP_3) | instskip(NEXT) | instid1(VALU_DEP_3)
	v_mov_b32_e32 v6, v8
	v_mov_b32_e32 v4, v5
	s_branch .LBB14_2
.LBB14_13:
	s_nop 0
	s_sendmsg sendmsg(MSG_DEALLOC_VGPRS)
	s_endpgm
	.section	.rodata,"a",@progbits
	.p2align	6, 0x0
	.amdhsa_kernel _ZN2at6native12cross_kernelIN3c107complexIdEE16OffsetCalculatorILi3EjLb0EElEEviPT_PKS7_SA_T0_T1_SC_SC_
		.amdhsa_group_segment_fixed_size 0
		.amdhsa_private_segment_fixed_size 0
		.amdhsa_kernarg_size 704
		.amdhsa_user_sgpr_count 15
		.amdhsa_user_sgpr_dispatch_ptr 0
		.amdhsa_user_sgpr_queue_ptr 0
		.amdhsa_user_sgpr_kernarg_segment_ptr 1
		.amdhsa_user_sgpr_dispatch_id 0
		.amdhsa_user_sgpr_private_segment_size 0
		.amdhsa_wavefront_size32 1
		.amdhsa_uses_dynamic_stack 0
		.amdhsa_enable_private_segment 0
		.amdhsa_system_sgpr_workgroup_id_x 1
		.amdhsa_system_sgpr_workgroup_id_y 0
		.amdhsa_system_sgpr_workgroup_id_z 0
		.amdhsa_system_sgpr_workgroup_info 0
		.amdhsa_system_vgpr_workitem_id 0
		.amdhsa_next_free_vgpr 48
		.amdhsa_next_free_sgpr 52
		.amdhsa_reserve_vcc 1
		.amdhsa_float_round_mode_32 0
		.amdhsa_float_round_mode_16_64 0
		.amdhsa_float_denorm_mode_32 3
		.amdhsa_float_denorm_mode_16_64 3
		.amdhsa_dx10_clamp 1
		.amdhsa_ieee_mode 1
		.amdhsa_fp16_overflow 0
		.amdhsa_workgroup_processor_mode 1
		.amdhsa_memory_ordered 1
		.amdhsa_forward_progress 0
		.amdhsa_shared_vgpr_count 0
		.amdhsa_exception_fp_ieee_invalid_op 0
		.amdhsa_exception_fp_denorm_src 0
		.amdhsa_exception_fp_ieee_div_zero 0
		.amdhsa_exception_fp_ieee_overflow 0
		.amdhsa_exception_fp_ieee_underflow 0
		.amdhsa_exception_fp_ieee_inexact 0
		.amdhsa_exception_int_div_zero 0
	.end_amdhsa_kernel
	.section	.text._ZN2at6native12cross_kernelIN3c107complexIdEE16OffsetCalculatorILi3EjLb0EElEEviPT_PKS7_SA_T0_T1_SC_SC_,"axG",@progbits,_ZN2at6native12cross_kernelIN3c107complexIdEE16OffsetCalculatorILi3EjLb0EElEEviPT_PKS7_SA_T0_T1_SC_SC_,comdat
.Lfunc_end14:
	.size	_ZN2at6native12cross_kernelIN3c107complexIdEE16OffsetCalculatorILi3EjLb0EElEEviPT_PKS7_SA_T0_T1_SC_SC_, .Lfunc_end14-_ZN2at6native12cross_kernelIN3c107complexIdEE16OffsetCalculatorILi3EjLb0EElEEviPT_PKS7_SA_T0_T1_SC_SC_
                                        ; -- End function
	.section	.AMDGPU.csdata,"",@progbits
; Kernel info:
; codeLenInByte = 1404
; NumSgprs: 54
; NumVgprs: 48
; ScratchSize: 0
; MemoryBound: 0
; FloatMode: 240
; IeeeMode: 1
; LDSByteSize: 0 bytes/workgroup (compile time only)
; SGPRBlocks: 6
; VGPRBlocks: 5
; NumSGPRsForWavesPerEU: 54
; NumVGPRsForWavesPerEU: 48
; Occupancy: 16
; WaveLimiterHint : 1
; COMPUTE_PGM_RSRC2:SCRATCH_EN: 0
; COMPUTE_PGM_RSRC2:USER_SGPR: 15
; COMPUTE_PGM_RSRC2:TRAP_HANDLER: 0
; COMPUTE_PGM_RSRC2:TGID_X_EN: 1
; COMPUTE_PGM_RSRC2:TGID_Y_EN: 0
; COMPUTE_PGM_RSRC2:TGID_Z_EN: 0
; COMPUTE_PGM_RSRC2:TIDIG_COMP_CNT: 0
	.section	.text._ZN2at6native12cross_kernelIN3c107complexIdEE16OffsetCalculatorILi3EjLb0EEiEEviPT_PKS7_SA_T0_T1_SC_SC_,"axG",@progbits,_ZN2at6native12cross_kernelIN3c107complexIdEE16OffsetCalculatorILi3EjLb0EEiEEviPT_PKS7_SA_T0_T1_SC_SC_,comdat
	.protected	_ZN2at6native12cross_kernelIN3c107complexIdEE16OffsetCalculatorILi3EjLb0EEiEEviPT_PKS7_SA_T0_T1_SC_SC_ ; -- Begin function _ZN2at6native12cross_kernelIN3c107complexIdEE16OffsetCalculatorILi3EjLb0EEiEEviPT_PKS7_SA_T0_T1_SC_SC_
	.globl	_ZN2at6native12cross_kernelIN3c107complexIdEE16OffsetCalculatorILi3EjLb0EEiEEviPT_PKS7_SA_T0_T1_SC_SC_
	.p2align	8
	.type	_ZN2at6native12cross_kernelIN3c107complexIdEE16OffsetCalculatorILi3EjLb0EEiEEviPT_PKS7_SA_T0_T1_SC_SC_,@function
_ZN2at6native12cross_kernelIN3c107complexIdEE16OffsetCalculatorILi3EjLb0EEiEEviPT_PKS7_SA_T0_T1_SC_SC_: ; @_ZN2at6native12cross_kernelIN3c107complexIdEE16OffsetCalculatorILi3EjLb0EEiEEviPT_PKS7_SA_T0_T1_SC_SC_
; %bb.0:
	s_clause 0x1
	s_load_b32 s2, s[0:1], 0x0
	s_load_b32 s4, s[0:1], 0x1bc
	v_mov_b32_e32 v1, 0
	s_waitcnt lgkmcnt(0)
	s_ashr_i32 s3, s2, 31
	s_add_u32 s12, s0, 0x1b0
	s_addc_u32 s13, s1, 0
	s_and_b32 s28, s4, 0xffff
	s_mov_b32 s4, exec_lo
	v_mad_u64_u32 v[2:3], null, s28, s15, v[0:1]
	s_delay_alu instid0(VALU_DEP_1)
	v_cmpx_gt_i64_e64 s[2:3], v[2:3]
	s_cbranch_execz .LBB15_13
; %bb.1:
	s_clause 0x1
	s_load_b256 s[4:11], s[0:1], 0x20
	s_load_b128 s[20:23], s[0:1], 0x1a4
	s_waitcnt lgkmcnt(0)
	s_load_b32 s23, s[12:13], 0x0
	s_clause 0x3
	s_load_b128 s[12:15], s[0:1], 0x8
	s_load_b64 s[24:25], s[0:1], 0x18
	s_load_b128 s[16:19], s[0:1], 0xe4
	s_load_b64 s[26:27], s[0:1], 0xf4
	s_mov_b32 s11, 0
	s_add_i32 s29, s4, -1
	s_waitcnt lgkmcnt(0)
	s_mul_i32 s33, s23, s28
	s_cmp_gt_u32 s29, 1
	s_mov_b32 s30, s21
	s_cselect_b32 s34, -1, 0
	s_cmp_lg_u32 s4, 0
	s_cselect_b32 s35, -1, 0
	s_min_u32 s23, s29, 15
	s_cmp_gt_u32 s4, 1
	s_cselect_b32 s4, -1, 0
	s_lshl_b32 s40, s22, 1
	s_add_i32 s28, s23, 1
	s_ashr_i32 s31, s21, 31
	s_ashr_i32 s21, s20, 31
	;; [unrolled: 1-line block ×3, first 2 shown]
	s_and_b32 s36, s28, 30
	s_bitcmp0_b32 s23, 0
	s_cselect_b32 s37, -1, 0
	s_ashr_i32 s23, s22, 31
	s_lshl_b64 s[28:29], s[30:31], 4
	s_lshl_b64 s[22:23], s[22:23], 4
	s_delay_alu instid0(SALU_CYCLE_1)
	s_sub_u32 s38, 0, s22
	s_subb_u32 s39, 0, s23
	s_lshl_b64 s[20:21], s[20:21], 4
	s_add_u32 s22, s0, 12
	s_addc_u32 s23, s1, 0
	s_lshl_b64 s[30:31], s[40:41], 4
	s_branch .LBB15_3
.LBB15_2:                               ;   in Loop: Header=BB15_3 Depth=1
	v_mov_b32_e32 v5, v1
	v_mov_b32_e32 v7, v1
	s_delay_alu instid0(VALU_DEP_2) | instskip(NEXT) | instid1(VALU_DEP_2)
	v_lshlrev_b64 v[4:5], 4, v[4:5]
	v_lshlrev_b64 v[6:7], 4, v[6:7]
	s_delay_alu instid0(VALU_DEP_2) | instskip(NEXT) | instid1(VALU_DEP_3)
	v_add_co_u32 v16, vcc_lo, s24, v4
	v_add_co_ci_u32_e32 v17, vcc_lo, s25, v5, vcc_lo
	s_delay_alu instid0(VALU_DEP_3) | instskip(NEXT) | instid1(VALU_DEP_4)
	v_add_co_u32 v12, vcc_lo, s14, v6
	v_add_co_ci_u32_e32 v13, vcc_lo, s15, v7, vcc_lo
	s_delay_alu instid0(VALU_DEP_4) | instskip(NEXT) | instid1(VALU_DEP_4)
	v_add_co_u32 v14, vcc_lo, v16, s30
	v_add_co_ci_u32_e32 v15, vcc_lo, s31, v17, vcc_lo
	s_delay_alu instid0(VALU_DEP_4) | instskip(NEXT) | instid1(VALU_DEP_4)
	;; [unrolled: 3-line block ×4, first 2 shown]
	v_add_co_u32 v24, vcc_lo, v18, s28
	v_add_co_ci_u32_e32 v25, vcc_lo, s29, v19, vcc_lo
	global_load_b128 v[4:7], v[14:15], off
	s_clause 0x1
	global_load_b128 v[8:11], v[18:19], off
	global_load_b128 v[12:15], v[12:13], off
	s_clause 0x1
	global_load_b128 v[16:19], v[16:17], off
	global_load_b128 v[20:23], v[20:21], off
	;; [unrolled: 1-line block ×3, first 2 shown]
	s_waitcnt vmcnt(3)
	v_mul_f64 v[32:33], v[6:7], v[14:15]
	v_mul_f64 v[28:29], v[6:7], v[10:11]
	;; [unrolled: 1-line block ×4, first 2 shown]
	s_waitcnt vmcnt(0)
	v_mul_f64 v[40:41], v[22:23], v[26:27]
	v_mul_f64 v[42:43], v[20:21], v[26:27]
	v_mul_f64 v[36:37], v[10:11], v[18:19]
	v_mul_f64 v[38:39], v[8:9], v[18:19]
	v_mul_f64 v[44:45], v[26:27], v[18:19]
	v_mul_f64 v[18:19], v[24:25], v[18:19]
	v_mul_f64 v[46:47], v[22:23], v[14:15]
	v_mul_f64 v[14:15], v[20:21], v[14:15]
	v_fma_f64 v[32:33], v[4:5], v[12:13], -v[32:33]
	v_fma_f64 v[28:29], v[4:5], v[8:9], -v[28:29]
	v_fma_f64 v[30:31], v[6:7], v[8:9], v[30:31]
	v_fma_f64 v[34:35], v[6:7], v[12:13], v[34:35]
	v_fma_f64 v[4:5], v[20:21], v[24:25], -v[40:41]
	v_fma_f64 v[6:7], v[22:23], v[24:25], v[42:43]
	v_fma_f64 v[36:37], v[8:9], v[16:17], -v[36:37]
	;; [unrolled: 2-line block ×4, first 2 shown]
	v_fma_f64 v[14:15], v[22:23], v[12:13], v[14:15]
	v_add_f64 v[4:5], v[28:29], -v[4:5]
	v_add_f64 v[6:7], v[30:31], -v[6:7]
	;; [unrolled: 1-line block ×6, first 2 shown]
	v_lshlrev_b64 v[16:17], 4, v[0:1]
	s_delay_alu instid0(VALU_DEP_1) | instskip(NEXT) | instid1(VALU_DEP_2)
	v_add_co_u32 v16, vcc_lo, s12, v16
	v_add_co_ci_u32_e32 v17, vcc_lo, s13, v17, vcc_lo
	v_add_co_u32 v2, vcc_lo, v2, s33
	v_add_co_ci_u32_e32 v3, vcc_lo, 0, v3, vcc_lo
	s_delay_alu instid0(VALU_DEP_4) | instskip(NEXT) | instid1(VALU_DEP_4)
	v_add_co_u32 v18, vcc_lo, v16, s20
	v_add_co_ci_u32_e32 v19, vcc_lo, s21, v17, vcc_lo
	s_delay_alu instid0(VALU_DEP_3) | instskip(NEXT) | instid1(VALU_DEP_3)
	v_cmp_le_i64_e32 vcc_lo, s[2:3], v[2:3]
	v_add_co_u32 v20, s0, v18, s20
	s_delay_alu instid0(VALU_DEP_1)
	v_add_co_ci_u32_e64 v21, s0, s21, v19, s0
	s_clause 0x2
	global_store_b128 v[16:17], v[4:7], off
	global_store_b128 v[18:19], v[8:11], off
	;; [unrolled: 1-line block ×3, first 2 shown]
	s_or_b32 s11, vcc_lo, s11
	s_delay_alu instid0(SALU_CYCLE_1)
	s_and_not1_b32 exec_lo, exec_lo, s11
	s_cbranch_execz .LBB15_13
.LBB15_3:                               ; =>This Loop Header: Depth=1
                                        ;     Child Loop BB15_6 Depth 2
	s_and_not1_b32 vcc_lo, exec_lo, s34
	s_cbranch_vccnz .LBB15_9
; %bb.4:                                ;   in Loop: Header=BB15_3 Depth=1
	v_mov_b32_e32 v0, 0
	v_mov_b32_e32 v6, 0
	;; [unrolled: 1-line block ×3, first 2 shown]
	s_and_not1_b32 vcc_lo, exec_lo, s35
	s_mov_b32 s40, 0
	s_cbranch_vccnz .LBB15_10
; %bb.5:                                ;   in Loop: Header=BB15_3 Depth=1
	v_dual_mov_b32 v4, 0 :: v_dual_mov_b32 v5, v2
	v_mov_b32_e32 v6, 0
	s_mov_b32 s41, s36
	s_mov_b64 s[0:1], s[22:23]
	s_delay_alu instid0(VALU_DEP_2)
	v_mov_b32_e32 v0, v4
	s_set_inst_prefetch_distance 0x1
	.p2align	6
.LBB15_6:                               ;   Parent Loop BB15_3 Depth=1
                                        ; =>  This Inner Loop Header: Depth=2
	s_clause 0x2
	s_load_b128 s[44:47], s[0:1], 0x18
	s_load_b64 s[42:43], s[0:1], 0x28
	s_load_b128 s[48:51], s[0:1], 0xd8
	s_waitcnt lgkmcnt(0)
	v_mul_hi_u32 v7, s45, v5
	s_delay_alu instid0(VALU_DEP_1) | instskip(NEXT) | instid1(VALU_DEP_1)
	v_add_nc_u32_e32 v7, v5, v7
	v_lshrrev_b32_e32 v7, s46, v7
	s_delay_alu instid0(VALU_DEP_1)
	v_mul_hi_u32 v8, s42, v7
	v_mul_lo_u32 v9, v7, s44
	s_load_b64 s[44:45], s[0:1], 0xe8
	s_add_u32 s0, s0, 24
	s_addc_u32 s1, s1, 0
	s_add_i32 s41, s41, -2
	s_delay_alu instid0(SALU_CYCLE_1) | instskip(NEXT) | instid1(VALU_DEP_2)
	s_cmp_lg_u32 s41, 0
	v_add_nc_u32_e32 v8, v7, v8
	s_delay_alu instid0(VALU_DEP_2) | instskip(NEXT) | instid1(VALU_DEP_2)
	v_sub_nc_u32_e32 v9, v5, v9
	v_lshrrev_b32_e32 v5, s43, v8
	s_delay_alu instid0(VALU_DEP_2) | instskip(NEXT) | instid1(VALU_DEP_2)
	v_mul_lo_u32 v10, v9, s48
	v_mul_lo_u32 v8, v5, s47
	s_delay_alu instid0(VALU_DEP_1) | instskip(SKIP_2) | instid1(VALU_DEP_3)
	v_sub_nc_u32_e32 v7, v7, v8
	v_mul_lo_u32 v8, v9, s49
	v_mul_lo_u32 v9, v9, s50
	;; [unrolled: 1-line block ×3, first 2 shown]
	s_waitcnt lgkmcnt(0)
	v_mul_lo_u32 v12, v7, s44
	v_mul_lo_u32 v7, v7, s45
	s_delay_alu instid0(VALU_DEP_3) | instskip(NEXT) | instid1(VALU_DEP_3)
	v_add3_u32 v0, v10, v0, v11
	v_add3_u32 v6, v8, v6, v12
	s_delay_alu instid0(VALU_DEP_3)
	v_add3_u32 v4, v9, v4, v7
	s_cbranch_scc1 .LBB15_6
; %bb.7:                                ;   in Loop: Header=BB15_3 Depth=1
	s_set_inst_prefetch_distance 0x2
	s_and_not1_b32 vcc_lo, exec_lo, s37
	s_cbranch_vccnz .LBB15_10
; %bb.8:                                ;   in Loop: Header=BB15_3 Depth=1
	s_clause 0x3
	s_load_b64 s[42:43], s[0:1], 0x18
	s_load_b32 s41, s[0:1], 0x20
	s_load_b64 s[44:45], s[0:1], 0xd8
	s_load_b32 s0, s[0:1], 0xe0
	s_waitcnt lgkmcnt(0)
	v_mul_hi_u32 v7, s43, v5
	s_delay_alu instid0(VALU_DEP_1) | instskip(NEXT) | instid1(VALU_DEP_1)
	v_add_nc_u32_e32 v7, v5, v7
	v_lshrrev_b32_e32 v7, s41, v7
	s_delay_alu instid0(VALU_DEP_1) | instskip(NEXT) | instid1(VALU_DEP_1)
	v_mul_lo_u32 v7, v7, s42
	v_sub_nc_u32_e32 v10, v5, v7
	s_delay_alu instid0(VALU_DEP_1) | instskip(NEXT) | instid1(VALU_DEP_1)
	v_mad_u64_u32 v[7:8], null, v10, s44, v[0:1]
	v_mad_u64_u32 v[8:9], null, v10, s45, v[6:7]
	;; [unrolled: 1-line block ×3, first 2 shown]
	v_mov_b32_e32 v0, v7
	s_delay_alu instid0(VALU_DEP_3) | instskip(NEXT) | instid1(VALU_DEP_3)
	v_mov_b32_e32 v6, v8
	v_mov_b32_e32 v4, v5
	s_branch .LBB15_10
.LBB15_9:                               ;   in Loop: Header=BB15_3 Depth=1
	s_mov_b32 s40, -1
                                        ; implicit-def: $vgpr6
                                        ; implicit-def: $vgpr4
.LBB15_10:                              ;   in Loop: Header=BB15_3 Depth=1
	s_delay_alu instid0(SALU_CYCLE_1)
	s_and_not1_b32 vcc_lo, exec_lo, s40
	s_cbranch_vccnz .LBB15_2
; %bb.11:                               ;   in Loop: Header=BB15_3 Depth=1
	v_mul_hi_u32 v0, v2, s6
	s_and_not1_b32 vcc_lo, exec_lo, s4
	s_delay_alu instid0(VALU_DEP_1) | instskip(NEXT) | instid1(VALU_DEP_1)
	v_add_nc_u32_e32 v0, v0, v2
	v_lshrrev_b32_e32 v5, s7, v0
	s_delay_alu instid0(VALU_DEP_1) | instskip(NEXT) | instid1(VALU_DEP_1)
	v_mul_lo_u32 v0, v5, s5
	v_sub_nc_u32_e32 v4, v2, v0
	s_delay_alu instid0(VALU_DEP_1)
	v_mul_lo_u32 v0, v4, s16
	v_mul_lo_u32 v6, v4, s17
	;; [unrolled: 1-line block ×3, first 2 shown]
	s_cbranch_vccnz .LBB15_2
; %bb.12:                               ;   in Loop: Header=BB15_3 Depth=1
	v_mul_hi_u32 v7, s9, v5
	s_delay_alu instid0(VALU_DEP_1) | instskip(NEXT) | instid1(VALU_DEP_1)
	v_add_nc_u32_e32 v7, v5, v7
	v_lshrrev_b32_e32 v7, s10, v7
	s_delay_alu instid0(VALU_DEP_1) | instskip(NEXT) | instid1(VALU_DEP_1)
	v_mul_lo_u32 v7, v7, s8
	v_sub_nc_u32_e32 v10, v5, v7
	s_delay_alu instid0(VALU_DEP_1) | instskip(NEXT) | instid1(VALU_DEP_1)
	v_mad_u64_u32 v[7:8], null, v10, s19, v[0:1]
	v_mad_u64_u32 v[8:9], null, v10, s26, v[6:7]
	;; [unrolled: 1-line block ×3, first 2 shown]
	v_mov_b32_e32 v0, v7
	s_delay_alu instid0(VALU_DEP_3) | instskip(NEXT) | instid1(VALU_DEP_3)
	v_mov_b32_e32 v6, v8
	v_mov_b32_e32 v4, v5
	s_branch .LBB15_2
.LBB15_13:
	s_nop 0
	s_sendmsg sendmsg(MSG_DEALLOC_VGPRS)
	s_endpgm
	.section	.rodata,"a",@progbits
	.p2align	6, 0x0
	.amdhsa_kernel _ZN2at6native12cross_kernelIN3c107complexIdEE16OffsetCalculatorILi3EjLb0EEiEEviPT_PKS7_SA_T0_T1_SC_SC_
		.amdhsa_group_segment_fixed_size 0
		.amdhsa_private_segment_fixed_size 0
		.amdhsa_kernarg_size 688
		.amdhsa_user_sgpr_count 15
		.amdhsa_user_sgpr_dispatch_ptr 0
		.amdhsa_user_sgpr_queue_ptr 0
		.amdhsa_user_sgpr_kernarg_segment_ptr 1
		.amdhsa_user_sgpr_dispatch_id 0
		.amdhsa_user_sgpr_private_segment_size 0
		.amdhsa_wavefront_size32 1
		.amdhsa_uses_dynamic_stack 0
		.amdhsa_enable_private_segment 0
		.amdhsa_system_sgpr_workgroup_id_x 1
		.amdhsa_system_sgpr_workgroup_id_y 0
		.amdhsa_system_sgpr_workgroup_id_z 0
		.amdhsa_system_sgpr_workgroup_info 0
		.amdhsa_system_vgpr_workitem_id 0
		.amdhsa_next_free_vgpr 48
		.amdhsa_next_free_sgpr 52
		.amdhsa_reserve_vcc 1
		.amdhsa_float_round_mode_32 0
		.amdhsa_float_round_mode_16_64 0
		.amdhsa_float_denorm_mode_32 3
		.amdhsa_float_denorm_mode_16_64 3
		.amdhsa_dx10_clamp 1
		.amdhsa_ieee_mode 1
		.amdhsa_fp16_overflow 0
		.amdhsa_workgroup_processor_mode 1
		.amdhsa_memory_ordered 1
		.amdhsa_forward_progress 0
		.amdhsa_shared_vgpr_count 0
		.amdhsa_exception_fp_ieee_invalid_op 0
		.amdhsa_exception_fp_denorm_src 0
		.amdhsa_exception_fp_ieee_div_zero 0
		.amdhsa_exception_fp_ieee_overflow 0
		.amdhsa_exception_fp_ieee_underflow 0
		.amdhsa_exception_fp_ieee_inexact 0
		.amdhsa_exception_int_div_zero 0
	.end_amdhsa_kernel
	.section	.text._ZN2at6native12cross_kernelIN3c107complexIdEE16OffsetCalculatorILi3EjLb0EEiEEviPT_PKS7_SA_T0_T1_SC_SC_,"axG",@progbits,_ZN2at6native12cross_kernelIN3c107complexIdEE16OffsetCalculatorILi3EjLb0EEiEEviPT_PKS7_SA_T0_T1_SC_SC_,comdat
.Lfunc_end15:
	.size	_ZN2at6native12cross_kernelIN3c107complexIdEE16OffsetCalculatorILi3EjLb0EEiEEviPT_PKS7_SA_T0_T1_SC_SC_, .Lfunc_end15-_ZN2at6native12cross_kernelIN3c107complexIdEE16OffsetCalculatorILi3EjLb0EEiEEviPT_PKS7_SA_T0_T1_SC_SC_
                                        ; -- End function
	.section	.AMDGPU.csdata,"",@progbits
; Kernel info:
; codeLenInByte = 1432
; NumSgprs: 54
; NumVgprs: 48
; ScratchSize: 0
; MemoryBound: 0
; FloatMode: 240
; IeeeMode: 1
; LDSByteSize: 0 bytes/workgroup (compile time only)
; SGPRBlocks: 6
; VGPRBlocks: 5
; NumSGPRsForWavesPerEU: 54
; NumVGPRsForWavesPerEU: 48
; Occupancy: 16
; WaveLimiterHint : 1
; COMPUTE_PGM_RSRC2:SCRATCH_EN: 0
; COMPUTE_PGM_RSRC2:USER_SGPR: 15
; COMPUTE_PGM_RSRC2:TRAP_HANDLER: 0
; COMPUTE_PGM_RSRC2:TGID_X_EN: 1
; COMPUTE_PGM_RSRC2:TGID_Y_EN: 0
; COMPUTE_PGM_RSRC2:TGID_Z_EN: 0
; COMPUTE_PGM_RSRC2:TIDIG_COMP_CNT: 0
	.section	.text._ZN2at6native12cross_kernelIN3c107complexIfEE16OffsetCalculatorILi3EjLb0EElEEviPT_PKS7_SA_T0_T1_SC_SC_,"axG",@progbits,_ZN2at6native12cross_kernelIN3c107complexIfEE16OffsetCalculatorILi3EjLb0EElEEviPT_PKS7_SA_T0_T1_SC_SC_,comdat
	.protected	_ZN2at6native12cross_kernelIN3c107complexIfEE16OffsetCalculatorILi3EjLb0EElEEviPT_PKS7_SA_T0_T1_SC_SC_ ; -- Begin function _ZN2at6native12cross_kernelIN3c107complexIfEE16OffsetCalculatorILi3EjLb0EElEEviPT_PKS7_SA_T0_T1_SC_SC_
	.globl	_ZN2at6native12cross_kernelIN3c107complexIfEE16OffsetCalculatorILi3EjLb0EElEEviPT_PKS7_SA_T0_T1_SC_SC_
	.p2align	8
	.type	_ZN2at6native12cross_kernelIN3c107complexIfEE16OffsetCalculatorILi3EjLb0EElEEviPT_PKS7_SA_T0_T1_SC_SC_,@function
_ZN2at6native12cross_kernelIN3c107complexIfEE16OffsetCalculatorILi3EjLb0EElEEviPT_PKS7_SA_T0_T1_SC_SC_: ; @_ZN2at6native12cross_kernelIN3c107complexIfEE16OffsetCalculatorILi3EjLb0EElEEviPT_PKS7_SA_T0_T1_SC_SC_
; %bb.0:
	s_clause 0x1
	s_load_b32 s2, s[0:1], 0x0
	s_load_b32 s4, s[0:1], 0x1cc
	v_mov_b32_e32 v1, 0
	s_waitcnt lgkmcnt(0)
	s_ashr_i32 s3, s2, 31
	s_add_u32 s12, s0, 0x1c0
	s_addc_u32 s13, s1, 0
	s_and_b32 s28, s4, 0xffff
	s_mov_b32 s4, exec_lo
	v_mad_u64_u32 v[2:3], null, s28, s15, v[0:1]
	s_delay_alu instid0(VALU_DEP_1)
	v_cmpx_gt_i64_e64 s[2:3], v[2:3]
	s_cbranch_execz .LBB16_13
; %bb.1:
	s_load_b256 s[4:11], s[0:1], 0x20
	s_load_b32 s29, s[12:13], 0x0
	s_clause 0x5
	s_load_b64 s[30:31], s[0:1], 0x1b8
	s_load_b128 s[12:15], s[0:1], 0x8
	s_load_b64 s[24:25], s[0:1], 0x18
	s_load_b128 s[20:23], s[0:1], 0x1a8
	s_load_b128 s[16:19], s[0:1], 0xe4
	s_load_b64 s[26:27], s[0:1], 0xf4
	s_waitcnt lgkmcnt(0)
	s_mov_b32 s11, 0
	s_add_i32 s36, s4, -1
	s_mul_i32 s33, s29, s28
	s_cmp_gt_u32 s36, 1
	s_cselect_b32 s34, -1, 0
	s_cmp_lg_u32 s4, 0
	s_cselect_b32 s35, -1, 0
	s_min_u32 s37, s36, 15
	s_cmp_gt_u32 s4, 1
	s_cselect_b32 s4, -1, 0
	s_add_i32 s36, s37, 1
	s_lshl_b64 s[28:29], s[30:31], 4
	s_and_b32 s36, s36, 30
	s_bitcmp0_b32 s37, 0
	s_cselect_b32 s37, -1, 0
	s_lshl_b64 s[30:31], s[30:31], 3
	s_lshl_b64 s[22:23], s[22:23], 3
	s_sub_u32 s38, 0, s30
	s_subb_u32 s39, 0, s31
	s_lshl_b64 s[20:21], s[20:21], 3
	s_add_u32 s30, s0, 12
	s_addc_u32 s31, s1, 0
	s_branch .LBB16_3
.LBB16_2:                               ;   in Loop: Header=BB16_3 Depth=1
	v_mov_b32_e32 v7, v1
	v_mov_b32_e32 v5, v1
	v_lshlrev_b64 v[16:17], 3, v[0:1]
	s_delay_alu instid0(VALU_DEP_3) | instskip(NEXT) | instid1(VALU_DEP_3)
	v_lshlrev_b64 v[6:7], 3, v[6:7]
	v_lshlrev_b64 v[4:5], 3, v[4:5]
	s_delay_alu instid0(VALU_DEP_2) | instskip(NEXT) | instid1(VALU_DEP_3)
	v_add_co_u32 v6, vcc_lo, s14, v6
	v_add_co_ci_u32_e32 v7, vcc_lo, s15, v7, vcc_lo
	s_delay_alu instid0(VALU_DEP_3) | instskip(NEXT) | instid1(VALU_DEP_4)
	v_add_co_u32 v4, vcc_lo, s24, v4
	v_add_co_ci_u32_e32 v5, vcc_lo, s25, v5, vcc_lo
	s_delay_alu instid0(VALU_DEP_4) | instskip(NEXT) | instid1(VALU_DEP_4)
	v_add_co_u32 v8, vcc_lo, v6, s22
	v_add_co_ci_u32_e32 v9, vcc_lo, s23, v7, vcc_lo
	s_delay_alu instid0(VALU_DEP_4) | instskip(NEXT) | instid1(VALU_DEP_4)
	v_add_co_u32 v10, vcc_lo, v4, s28
	v_add_co_ci_u32_e32 v11, vcc_lo, s29, v5, vcc_lo
	global_load_b64 v[12:13], v[8:9], off
	global_load_b64 v[14:15], v[10:11], off
	v_add_co_u32 v8, vcc_lo, v8, s22
	v_add_co_ci_u32_e32 v9, vcc_lo, s23, v9, vcc_lo
	v_add_co_u32 v10, vcc_lo, v10, s38
	global_load_b64 v[6:7], v[6:7], off
	v_add_co_ci_u32_e32 v11, vcc_lo, s39, v11, vcc_lo
	global_load_b64 v[4:5], v[4:5], off
	global_load_b64 v[8:9], v[8:9], off
	;; [unrolled: 1-line block ×3, first 2 shown]
	v_add_co_u32 v16, vcc_lo, s12, v16
	v_add_co_ci_u32_e32 v17, vcc_lo, s13, v17, vcc_lo
	v_add_co_u32 v2, vcc_lo, v2, s33
	v_add_co_ci_u32_e32 v3, vcc_lo, 0, v3, vcc_lo
	s_delay_alu instid0(VALU_DEP_4) | instskip(NEXT) | instid1(VALU_DEP_4)
	v_add_co_u32 v18, vcc_lo, v16, s20
	v_add_co_ci_u32_e32 v19, vcc_lo, s21, v17, vcc_lo
	s_delay_alu instid0(VALU_DEP_3) | instskip(NEXT) | instid1(VALU_DEP_3)
	v_cmp_le_i64_e32 vcc_lo, s[2:3], v[2:3]
	v_add_co_u32 v20, s0, v18, s20
	s_delay_alu instid0(VALU_DEP_1) | instskip(SKIP_4) | instid1(VALU_DEP_2)
	v_add_co_ci_u32_e64 v21, s0, s21, v19, s0
	s_or_b32 s11, vcc_lo, s11
	s_waitcnt vmcnt(4)
	v_mul_f32_e32 v22, v14, v13
	v_mul_f32_e32 v0, v15, v13
	v_fmac_f32_e32 v22, v15, v12
	s_delay_alu instid0(VALU_DEP_2)
	v_fma_f32 v0, v14, v12, -v0
	s_waitcnt vmcnt(3)
	v_mul_f32_e32 v24, v14, v7
	s_waitcnt vmcnt(2)
	v_dual_mul_f32 v23, v15, v7 :: v_dual_mul_f32 v26, v5, v12
	s_waitcnt vmcnt(1)
	v_mul_f32_e32 v29, v5, v9
	s_waitcnt vmcnt(0)
	v_dual_mul_f32 v27, v11, v9 :: v_dual_mul_f32 v30, v5, v8
	v_mul_f32_e32 v28, v10, v9
	v_mul_f32_e32 v25, v5, v13
	;; [unrolled: 1-line block ×3, first 2 shown]
	v_dual_fmac_f32 v24, v15, v6 :: v_dual_mul_f32 v15, v10, v7
	v_fma_f32 v7, v10, v8, -v27
	v_fmac_f32_e32 v28, v11, v8
	v_fma_f32 v14, v14, v6, -v23
	v_fma_f32 v8, v4, v8, -v29
	v_fmac_f32_e32 v30, v4, v9
	v_fma_f32 v12, v4, v12, -v25
	v_dual_fmac_f32 v26, v4, v13 :: v_dual_fmac_f32 v15, v11, v6
	v_fma_f32 v9, v10, v6, -v5
	v_dual_sub_f32 v5, v22, v28 :: v_dual_sub_f32 v4, v0, v7
	v_dual_sub_f32 v7, v30, v24 :: v_dual_sub_f32 v6, v8, v14
	s_delay_alu instid0(VALU_DEP_3)
	v_dual_sub_f32 v8, v9, v12 :: v_dual_sub_f32 v9, v15, v26
	s_clause 0x2
	global_store_b64 v[16:17], v[4:5], off
	global_store_b64 v[18:19], v[6:7], off
	;; [unrolled: 1-line block ×3, first 2 shown]
	s_and_not1_b32 exec_lo, exec_lo, s11
	s_cbranch_execz .LBB16_13
.LBB16_3:                               ; =>This Loop Header: Depth=1
                                        ;     Child Loop BB16_6 Depth 2
	s_and_not1_b32 vcc_lo, exec_lo, s34
	s_cbranch_vccnz .LBB16_9
; %bb.4:                                ;   in Loop: Header=BB16_3 Depth=1
	v_mov_b32_e32 v0, 0
	v_mov_b32_e32 v6, 0
	;; [unrolled: 1-line block ×3, first 2 shown]
	s_and_not1_b32 vcc_lo, exec_lo, s35
	s_mov_b32 s40, 0
	s_cbranch_vccnz .LBB16_10
; %bb.5:                                ;   in Loop: Header=BB16_3 Depth=1
	v_dual_mov_b32 v4, 0 :: v_dual_mov_b32 v5, v2
	v_mov_b32_e32 v6, 0
	s_mov_b32 s41, s36
	s_mov_b64 s[0:1], s[30:31]
	s_delay_alu instid0(VALU_DEP_2)
	v_mov_b32_e32 v0, v4
	s_set_inst_prefetch_distance 0x1
	.p2align	6
.LBB16_6:                               ;   Parent Loop BB16_3 Depth=1
                                        ; =>  This Inner Loop Header: Depth=2
	s_clause 0x2
	s_load_b128 s[44:47], s[0:1], 0x18
	s_load_b64 s[42:43], s[0:1], 0x28
	s_load_b128 s[48:51], s[0:1], 0xd8
	s_waitcnt lgkmcnt(0)
	v_mul_hi_u32 v7, s45, v5
	s_delay_alu instid0(VALU_DEP_1) | instskip(NEXT) | instid1(VALU_DEP_1)
	v_add_nc_u32_e32 v7, v5, v7
	v_lshrrev_b32_e32 v7, s46, v7
	s_delay_alu instid0(VALU_DEP_1)
	v_mul_hi_u32 v8, s42, v7
	v_mul_lo_u32 v9, v7, s44
	s_load_b64 s[44:45], s[0:1], 0xe8
	s_add_u32 s0, s0, 24
	s_addc_u32 s1, s1, 0
	s_add_i32 s41, s41, -2
	s_delay_alu instid0(SALU_CYCLE_1) | instskip(NEXT) | instid1(VALU_DEP_2)
	s_cmp_lg_u32 s41, 0
	v_add_nc_u32_e32 v8, v7, v8
	s_delay_alu instid0(VALU_DEP_2) | instskip(NEXT) | instid1(VALU_DEP_2)
	v_sub_nc_u32_e32 v9, v5, v9
	v_lshrrev_b32_e32 v5, s43, v8
	s_delay_alu instid0(VALU_DEP_2) | instskip(NEXT) | instid1(VALU_DEP_2)
	v_mul_lo_u32 v10, v9, s48
	v_mul_lo_u32 v8, v5, s47
	s_delay_alu instid0(VALU_DEP_1) | instskip(SKIP_2) | instid1(VALU_DEP_3)
	v_sub_nc_u32_e32 v7, v7, v8
	v_mul_lo_u32 v8, v9, s49
	v_mul_lo_u32 v9, v9, s50
	;; [unrolled: 1-line block ×3, first 2 shown]
	s_waitcnt lgkmcnt(0)
	v_mul_lo_u32 v12, v7, s44
	v_mul_lo_u32 v7, v7, s45
	s_delay_alu instid0(VALU_DEP_3) | instskip(NEXT) | instid1(VALU_DEP_3)
	v_add3_u32 v0, v10, v0, v11
	v_add3_u32 v6, v8, v6, v12
	s_delay_alu instid0(VALU_DEP_3)
	v_add3_u32 v4, v9, v4, v7
	s_cbranch_scc1 .LBB16_6
; %bb.7:                                ;   in Loop: Header=BB16_3 Depth=1
	s_set_inst_prefetch_distance 0x2
	s_and_not1_b32 vcc_lo, exec_lo, s37
	s_cbranch_vccnz .LBB16_10
; %bb.8:                                ;   in Loop: Header=BB16_3 Depth=1
	s_clause 0x3
	s_load_b64 s[42:43], s[0:1], 0x18
	s_load_b32 s41, s[0:1], 0x20
	s_load_b64 s[44:45], s[0:1], 0xd8
	s_load_b32 s0, s[0:1], 0xe0
	s_waitcnt lgkmcnt(0)
	v_mul_hi_u32 v7, s43, v5
	s_delay_alu instid0(VALU_DEP_1) | instskip(NEXT) | instid1(VALU_DEP_1)
	v_add_nc_u32_e32 v7, v5, v7
	v_lshrrev_b32_e32 v7, s41, v7
	s_delay_alu instid0(VALU_DEP_1) | instskip(NEXT) | instid1(VALU_DEP_1)
	v_mul_lo_u32 v7, v7, s42
	v_sub_nc_u32_e32 v10, v5, v7
	s_delay_alu instid0(VALU_DEP_1) | instskip(NEXT) | instid1(VALU_DEP_1)
	v_mad_u64_u32 v[7:8], null, v10, s44, v[0:1]
	v_mad_u64_u32 v[8:9], null, v10, s45, v[6:7]
	;; [unrolled: 1-line block ×3, first 2 shown]
	v_mov_b32_e32 v0, v7
	s_delay_alu instid0(VALU_DEP_3) | instskip(NEXT) | instid1(VALU_DEP_3)
	v_mov_b32_e32 v6, v8
	v_mov_b32_e32 v4, v5
	s_branch .LBB16_10
.LBB16_9:                               ;   in Loop: Header=BB16_3 Depth=1
	s_mov_b32 s40, -1
                                        ; implicit-def: $vgpr6
                                        ; implicit-def: $vgpr4
.LBB16_10:                              ;   in Loop: Header=BB16_3 Depth=1
	s_delay_alu instid0(SALU_CYCLE_1)
	s_and_not1_b32 vcc_lo, exec_lo, s40
	s_cbranch_vccnz .LBB16_2
; %bb.11:                               ;   in Loop: Header=BB16_3 Depth=1
	v_mul_hi_u32 v0, v2, s6
	s_and_not1_b32 vcc_lo, exec_lo, s4
	s_delay_alu instid0(VALU_DEP_1) | instskip(NEXT) | instid1(VALU_DEP_1)
	v_add_nc_u32_e32 v0, v0, v2
	v_lshrrev_b32_e32 v5, s7, v0
	s_delay_alu instid0(VALU_DEP_1) | instskip(NEXT) | instid1(VALU_DEP_1)
	v_mul_lo_u32 v0, v5, s5
	v_sub_nc_u32_e32 v4, v2, v0
	s_delay_alu instid0(VALU_DEP_1)
	v_mul_lo_u32 v0, v4, s16
	v_mul_lo_u32 v6, v4, s17
	;; [unrolled: 1-line block ×3, first 2 shown]
	s_cbranch_vccnz .LBB16_2
; %bb.12:                               ;   in Loop: Header=BB16_3 Depth=1
	v_mul_hi_u32 v7, s9, v5
	s_delay_alu instid0(VALU_DEP_1) | instskip(NEXT) | instid1(VALU_DEP_1)
	v_add_nc_u32_e32 v7, v5, v7
	v_lshrrev_b32_e32 v7, s10, v7
	s_delay_alu instid0(VALU_DEP_1) | instskip(NEXT) | instid1(VALU_DEP_1)
	v_mul_lo_u32 v7, v7, s8
	v_sub_nc_u32_e32 v10, v5, v7
	s_delay_alu instid0(VALU_DEP_1) | instskip(NEXT) | instid1(VALU_DEP_1)
	v_mad_u64_u32 v[7:8], null, v10, s19, v[0:1]
	v_mad_u64_u32 v[8:9], null, v10, s26, v[6:7]
	;; [unrolled: 1-line block ×3, first 2 shown]
	v_mov_b32_e32 v0, v7
	s_delay_alu instid0(VALU_DEP_3) | instskip(NEXT) | instid1(VALU_DEP_3)
	v_mov_b32_e32 v6, v8
	v_mov_b32_e32 v4, v5
	s_branch .LBB16_2
.LBB16_13:
	s_nop 0
	s_sendmsg sendmsg(MSG_DEALLOC_VGPRS)
	s_endpgm
	.section	.rodata,"a",@progbits
	.p2align	6, 0x0
	.amdhsa_kernel _ZN2at6native12cross_kernelIN3c107complexIfEE16OffsetCalculatorILi3EjLb0EElEEviPT_PKS7_SA_T0_T1_SC_SC_
		.amdhsa_group_segment_fixed_size 0
		.amdhsa_private_segment_fixed_size 0
		.amdhsa_kernarg_size 704
		.amdhsa_user_sgpr_count 15
		.amdhsa_user_sgpr_dispatch_ptr 0
		.amdhsa_user_sgpr_queue_ptr 0
		.amdhsa_user_sgpr_kernarg_segment_ptr 1
		.amdhsa_user_sgpr_dispatch_id 0
		.amdhsa_user_sgpr_private_segment_size 0
		.amdhsa_wavefront_size32 1
		.amdhsa_uses_dynamic_stack 0
		.amdhsa_enable_private_segment 0
		.amdhsa_system_sgpr_workgroup_id_x 1
		.amdhsa_system_sgpr_workgroup_id_y 0
		.amdhsa_system_sgpr_workgroup_id_z 0
		.amdhsa_system_sgpr_workgroup_info 0
		.amdhsa_system_vgpr_workitem_id 0
		.amdhsa_next_free_vgpr 31
		.amdhsa_next_free_sgpr 52
		.amdhsa_reserve_vcc 1
		.amdhsa_float_round_mode_32 0
		.amdhsa_float_round_mode_16_64 0
		.amdhsa_float_denorm_mode_32 3
		.amdhsa_float_denorm_mode_16_64 3
		.amdhsa_dx10_clamp 1
		.amdhsa_ieee_mode 1
		.amdhsa_fp16_overflow 0
		.amdhsa_workgroup_processor_mode 1
		.amdhsa_memory_ordered 1
		.amdhsa_forward_progress 0
		.amdhsa_shared_vgpr_count 0
		.amdhsa_exception_fp_ieee_invalid_op 0
		.amdhsa_exception_fp_denorm_src 0
		.amdhsa_exception_fp_ieee_div_zero 0
		.amdhsa_exception_fp_ieee_overflow 0
		.amdhsa_exception_fp_ieee_underflow 0
		.amdhsa_exception_fp_ieee_inexact 0
		.amdhsa_exception_int_div_zero 0
	.end_amdhsa_kernel
	.section	.text._ZN2at6native12cross_kernelIN3c107complexIfEE16OffsetCalculatorILi3EjLb0EElEEviPT_PKS7_SA_T0_T1_SC_SC_,"axG",@progbits,_ZN2at6native12cross_kernelIN3c107complexIfEE16OffsetCalculatorILi3EjLb0EElEEviPT_PKS7_SA_T0_T1_SC_SC_,comdat
.Lfunc_end16:
	.size	_ZN2at6native12cross_kernelIN3c107complexIfEE16OffsetCalculatorILi3EjLb0EElEEviPT_PKS7_SA_T0_T1_SC_SC_, .Lfunc_end16-_ZN2at6native12cross_kernelIN3c107complexIfEE16OffsetCalculatorILi3EjLb0EElEEviPT_PKS7_SA_T0_T1_SC_SC_
                                        ; -- End function
	.section	.AMDGPU.csdata,"",@progbits
; Kernel info:
; codeLenInByte = 1304
; NumSgprs: 54
; NumVgprs: 31
; ScratchSize: 0
; MemoryBound: 0
; FloatMode: 240
; IeeeMode: 1
; LDSByteSize: 0 bytes/workgroup (compile time only)
; SGPRBlocks: 6
; VGPRBlocks: 3
; NumSGPRsForWavesPerEU: 54
; NumVGPRsForWavesPerEU: 31
; Occupancy: 16
; WaveLimiterHint : 1
; COMPUTE_PGM_RSRC2:SCRATCH_EN: 0
; COMPUTE_PGM_RSRC2:USER_SGPR: 15
; COMPUTE_PGM_RSRC2:TRAP_HANDLER: 0
; COMPUTE_PGM_RSRC2:TGID_X_EN: 1
; COMPUTE_PGM_RSRC2:TGID_Y_EN: 0
; COMPUTE_PGM_RSRC2:TGID_Z_EN: 0
; COMPUTE_PGM_RSRC2:TIDIG_COMP_CNT: 0
	.section	.text._ZN2at6native12cross_kernelIN3c107complexIfEE16OffsetCalculatorILi3EjLb0EEiEEviPT_PKS7_SA_T0_T1_SC_SC_,"axG",@progbits,_ZN2at6native12cross_kernelIN3c107complexIfEE16OffsetCalculatorILi3EjLb0EEiEEviPT_PKS7_SA_T0_T1_SC_SC_,comdat
	.protected	_ZN2at6native12cross_kernelIN3c107complexIfEE16OffsetCalculatorILi3EjLb0EEiEEviPT_PKS7_SA_T0_T1_SC_SC_ ; -- Begin function _ZN2at6native12cross_kernelIN3c107complexIfEE16OffsetCalculatorILi3EjLb0EEiEEviPT_PKS7_SA_T0_T1_SC_SC_
	.globl	_ZN2at6native12cross_kernelIN3c107complexIfEE16OffsetCalculatorILi3EjLb0EEiEEviPT_PKS7_SA_T0_T1_SC_SC_
	.p2align	8
	.type	_ZN2at6native12cross_kernelIN3c107complexIfEE16OffsetCalculatorILi3EjLb0EEiEEviPT_PKS7_SA_T0_T1_SC_SC_,@function
_ZN2at6native12cross_kernelIN3c107complexIfEE16OffsetCalculatorILi3EjLb0EEiEEviPT_PKS7_SA_T0_T1_SC_SC_: ; @_ZN2at6native12cross_kernelIN3c107complexIfEE16OffsetCalculatorILi3EjLb0EEiEEviPT_PKS7_SA_T0_T1_SC_SC_
; %bb.0:
	s_clause 0x1
	s_load_b32 s2, s[0:1], 0x0
	s_load_b32 s4, s[0:1], 0x1bc
	v_mov_b32_e32 v1, 0
	s_waitcnt lgkmcnt(0)
	s_ashr_i32 s3, s2, 31
	s_add_u32 s12, s0, 0x1b0
	s_addc_u32 s13, s1, 0
	s_and_b32 s28, s4, 0xffff
	s_mov_b32 s4, exec_lo
	v_mad_u64_u32 v[2:3], null, s28, s15, v[0:1]
	s_delay_alu instid0(VALU_DEP_1)
	v_cmpx_gt_i64_e64 s[2:3], v[2:3]
	s_cbranch_execz .LBB17_13
; %bb.1:
	s_clause 0x1
	s_load_b256 s[4:11], s[0:1], 0x20
	s_load_b128 s[20:23], s[0:1], 0x1a4
	s_waitcnt lgkmcnt(0)
	s_load_b32 s23, s[12:13], 0x0
	s_clause 0x3
	s_load_b128 s[12:15], s[0:1], 0x8
	s_load_b64 s[24:25], s[0:1], 0x18
	s_load_b128 s[16:19], s[0:1], 0xe4
	s_load_b64 s[26:27], s[0:1], 0xf4
	s_mov_b32 s11, 0
	s_add_i32 s29, s4, -1
	s_waitcnt lgkmcnt(0)
	s_mul_i32 s33, s23, s28
	s_cmp_gt_u32 s29, 1
	s_mov_b32 s30, s21
	s_cselect_b32 s34, -1, 0
	s_cmp_lg_u32 s4, 0
	s_cselect_b32 s35, -1, 0
	s_min_u32 s23, s29, 15
	s_cmp_gt_u32 s4, 1
	s_cselect_b32 s4, -1, 0
	s_lshl_b32 s40, s22, 1
	s_add_i32 s28, s23, 1
	s_ashr_i32 s31, s21, 31
	s_ashr_i32 s21, s20, 31
	;; [unrolled: 1-line block ×3, first 2 shown]
	s_and_b32 s36, s28, 30
	s_bitcmp0_b32 s23, 0
	s_cselect_b32 s37, -1, 0
	s_ashr_i32 s23, s22, 31
	s_lshl_b64 s[28:29], s[30:31], 3
	s_lshl_b64 s[22:23], s[22:23], 3
	s_delay_alu instid0(SALU_CYCLE_1)
	s_sub_u32 s38, 0, s22
	s_subb_u32 s39, 0, s23
	s_lshl_b64 s[20:21], s[20:21], 3
	s_add_u32 s22, s0, 12
	s_addc_u32 s23, s1, 0
	s_lshl_b64 s[30:31], s[40:41], 3
	s_branch .LBB17_3
.LBB17_2:                               ;   in Loop: Header=BB17_3 Depth=1
	v_mov_b32_e32 v7, v1
	v_mov_b32_e32 v5, v1
	v_lshlrev_b64 v[16:17], 3, v[0:1]
	s_delay_alu instid0(VALU_DEP_3) | instskip(NEXT) | instid1(VALU_DEP_3)
	v_lshlrev_b64 v[6:7], 3, v[6:7]
	v_lshlrev_b64 v[4:5], 3, v[4:5]
	s_delay_alu instid0(VALU_DEP_2) | instskip(NEXT) | instid1(VALU_DEP_3)
	v_add_co_u32 v6, vcc_lo, s14, v6
	v_add_co_ci_u32_e32 v7, vcc_lo, s15, v7, vcc_lo
	s_delay_alu instid0(VALU_DEP_3) | instskip(NEXT) | instid1(VALU_DEP_4)
	v_add_co_u32 v4, vcc_lo, s24, v4
	v_add_co_ci_u32_e32 v5, vcc_lo, s25, v5, vcc_lo
	s_delay_alu instid0(VALU_DEP_4) | instskip(NEXT) | instid1(VALU_DEP_4)
	v_add_co_u32 v8, vcc_lo, v6, s28
	v_add_co_ci_u32_e32 v9, vcc_lo, s29, v7, vcc_lo
	s_delay_alu instid0(VALU_DEP_4) | instskip(NEXT) | instid1(VALU_DEP_4)
	v_add_co_u32 v10, vcc_lo, v4, s30
	v_add_co_ci_u32_e32 v11, vcc_lo, s31, v5, vcc_lo
	global_load_b64 v[12:13], v[8:9], off
	global_load_b64 v[14:15], v[10:11], off
	v_add_co_u32 v8, vcc_lo, v8, s28
	v_add_co_ci_u32_e32 v9, vcc_lo, s29, v9, vcc_lo
	v_add_co_u32 v10, vcc_lo, v10, s38
	global_load_b64 v[6:7], v[6:7], off
	v_add_co_ci_u32_e32 v11, vcc_lo, s39, v11, vcc_lo
	global_load_b64 v[4:5], v[4:5], off
	global_load_b64 v[8:9], v[8:9], off
	global_load_b64 v[10:11], v[10:11], off
	v_add_co_u32 v16, vcc_lo, s12, v16
	v_add_co_ci_u32_e32 v17, vcc_lo, s13, v17, vcc_lo
	v_add_co_u32 v2, vcc_lo, v2, s33
	v_add_co_ci_u32_e32 v3, vcc_lo, 0, v3, vcc_lo
	s_delay_alu instid0(VALU_DEP_4) | instskip(NEXT) | instid1(VALU_DEP_4)
	v_add_co_u32 v18, vcc_lo, v16, s20
	v_add_co_ci_u32_e32 v19, vcc_lo, s21, v17, vcc_lo
	s_delay_alu instid0(VALU_DEP_3) | instskip(NEXT) | instid1(VALU_DEP_3)
	v_cmp_le_i64_e32 vcc_lo, s[2:3], v[2:3]
	v_add_co_u32 v20, s0, v18, s20
	s_delay_alu instid0(VALU_DEP_1) | instskip(SKIP_4) | instid1(VALU_DEP_2)
	v_add_co_ci_u32_e64 v21, s0, s21, v19, s0
	s_or_b32 s11, vcc_lo, s11
	s_waitcnt vmcnt(4)
	v_mul_f32_e32 v22, v14, v13
	v_mul_f32_e32 v0, v15, v13
	v_fmac_f32_e32 v22, v15, v12
	s_delay_alu instid0(VALU_DEP_2)
	v_fma_f32 v0, v14, v12, -v0
	s_waitcnt vmcnt(3)
	v_mul_f32_e32 v24, v14, v7
	s_waitcnt vmcnt(2)
	v_dual_mul_f32 v23, v15, v7 :: v_dual_mul_f32 v26, v5, v12
	s_waitcnt vmcnt(1)
	v_mul_f32_e32 v29, v5, v9
	s_waitcnt vmcnt(0)
	v_dual_mul_f32 v27, v11, v9 :: v_dual_mul_f32 v30, v5, v8
	v_mul_f32_e32 v28, v10, v9
	v_mul_f32_e32 v25, v5, v13
	;; [unrolled: 1-line block ×3, first 2 shown]
	v_dual_fmac_f32 v24, v15, v6 :: v_dual_mul_f32 v15, v10, v7
	v_fma_f32 v7, v10, v8, -v27
	v_fmac_f32_e32 v28, v11, v8
	v_fma_f32 v14, v14, v6, -v23
	v_fma_f32 v8, v4, v8, -v29
	v_fmac_f32_e32 v30, v4, v9
	v_fma_f32 v12, v4, v12, -v25
	v_dual_fmac_f32 v26, v4, v13 :: v_dual_fmac_f32 v15, v11, v6
	v_fma_f32 v9, v10, v6, -v5
	v_dual_sub_f32 v5, v22, v28 :: v_dual_sub_f32 v4, v0, v7
	v_dual_sub_f32 v7, v30, v24 :: v_dual_sub_f32 v6, v8, v14
	s_delay_alu instid0(VALU_DEP_3)
	v_dual_sub_f32 v8, v9, v12 :: v_dual_sub_f32 v9, v15, v26
	s_clause 0x2
	global_store_b64 v[16:17], v[4:5], off
	global_store_b64 v[18:19], v[6:7], off
	;; [unrolled: 1-line block ×3, first 2 shown]
	s_and_not1_b32 exec_lo, exec_lo, s11
	s_cbranch_execz .LBB17_13
.LBB17_3:                               ; =>This Loop Header: Depth=1
                                        ;     Child Loop BB17_6 Depth 2
	s_and_not1_b32 vcc_lo, exec_lo, s34
	s_cbranch_vccnz .LBB17_9
; %bb.4:                                ;   in Loop: Header=BB17_3 Depth=1
	v_mov_b32_e32 v0, 0
	v_mov_b32_e32 v6, 0
	;; [unrolled: 1-line block ×3, first 2 shown]
	s_and_not1_b32 vcc_lo, exec_lo, s35
	s_mov_b32 s40, 0
	s_cbranch_vccnz .LBB17_10
; %bb.5:                                ;   in Loop: Header=BB17_3 Depth=1
	v_dual_mov_b32 v4, 0 :: v_dual_mov_b32 v5, v2
	v_mov_b32_e32 v6, 0
	s_mov_b32 s41, s36
	s_mov_b64 s[0:1], s[22:23]
	s_delay_alu instid0(VALU_DEP_2)
	v_mov_b32_e32 v0, v4
	s_set_inst_prefetch_distance 0x1
	.p2align	6
.LBB17_6:                               ;   Parent Loop BB17_3 Depth=1
                                        ; =>  This Inner Loop Header: Depth=2
	s_clause 0x2
	s_load_b128 s[44:47], s[0:1], 0x18
	s_load_b64 s[42:43], s[0:1], 0x28
	s_load_b128 s[48:51], s[0:1], 0xd8
	s_waitcnt lgkmcnt(0)
	v_mul_hi_u32 v7, s45, v5
	s_delay_alu instid0(VALU_DEP_1) | instskip(NEXT) | instid1(VALU_DEP_1)
	v_add_nc_u32_e32 v7, v5, v7
	v_lshrrev_b32_e32 v7, s46, v7
	s_delay_alu instid0(VALU_DEP_1)
	v_mul_hi_u32 v8, s42, v7
	v_mul_lo_u32 v9, v7, s44
	s_load_b64 s[44:45], s[0:1], 0xe8
	s_add_u32 s0, s0, 24
	s_addc_u32 s1, s1, 0
	s_add_i32 s41, s41, -2
	s_delay_alu instid0(SALU_CYCLE_1) | instskip(NEXT) | instid1(VALU_DEP_2)
	s_cmp_lg_u32 s41, 0
	v_add_nc_u32_e32 v8, v7, v8
	s_delay_alu instid0(VALU_DEP_2) | instskip(NEXT) | instid1(VALU_DEP_2)
	v_sub_nc_u32_e32 v9, v5, v9
	v_lshrrev_b32_e32 v5, s43, v8
	s_delay_alu instid0(VALU_DEP_2) | instskip(NEXT) | instid1(VALU_DEP_2)
	v_mul_lo_u32 v10, v9, s48
	v_mul_lo_u32 v8, v5, s47
	s_delay_alu instid0(VALU_DEP_1) | instskip(SKIP_2) | instid1(VALU_DEP_3)
	v_sub_nc_u32_e32 v7, v7, v8
	v_mul_lo_u32 v8, v9, s49
	v_mul_lo_u32 v9, v9, s50
	;; [unrolled: 1-line block ×3, first 2 shown]
	s_waitcnt lgkmcnt(0)
	v_mul_lo_u32 v12, v7, s44
	v_mul_lo_u32 v7, v7, s45
	s_delay_alu instid0(VALU_DEP_3) | instskip(NEXT) | instid1(VALU_DEP_3)
	v_add3_u32 v0, v10, v0, v11
	v_add3_u32 v6, v8, v6, v12
	s_delay_alu instid0(VALU_DEP_3)
	v_add3_u32 v4, v9, v4, v7
	s_cbranch_scc1 .LBB17_6
; %bb.7:                                ;   in Loop: Header=BB17_3 Depth=1
	s_set_inst_prefetch_distance 0x2
	s_and_not1_b32 vcc_lo, exec_lo, s37
	s_cbranch_vccnz .LBB17_10
; %bb.8:                                ;   in Loop: Header=BB17_3 Depth=1
	s_clause 0x3
	s_load_b64 s[42:43], s[0:1], 0x18
	s_load_b32 s41, s[0:1], 0x20
	s_load_b64 s[44:45], s[0:1], 0xd8
	s_load_b32 s0, s[0:1], 0xe0
	s_waitcnt lgkmcnt(0)
	v_mul_hi_u32 v7, s43, v5
	s_delay_alu instid0(VALU_DEP_1) | instskip(NEXT) | instid1(VALU_DEP_1)
	v_add_nc_u32_e32 v7, v5, v7
	v_lshrrev_b32_e32 v7, s41, v7
	s_delay_alu instid0(VALU_DEP_1) | instskip(NEXT) | instid1(VALU_DEP_1)
	v_mul_lo_u32 v7, v7, s42
	v_sub_nc_u32_e32 v10, v5, v7
	s_delay_alu instid0(VALU_DEP_1) | instskip(NEXT) | instid1(VALU_DEP_1)
	v_mad_u64_u32 v[7:8], null, v10, s44, v[0:1]
	v_mad_u64_u32 v[8:9], null, v10, s45, v[6:7]
	;; [unrolled: 1-line block ×3, first 2 shown]
	v_mov_b32_e32 v0, v7
	s_delay_alu instid0(VALU_DEP_3) | instskip(NEXT) | instid1(VALU_DEP_3)
	v_mov_b32_e32 v6, v8
	v_mov_b32_e32 v4, v5
	s_branch .LBB17_10
.LBB17_9:                               ;   in Loop: Header=BB17_3 Depth=1
	s_mov_b32 s40, -1
                                        ; implicit-def: $vgpr6
                                        ; implicit-def: $vgpr4
.LBB17_10:                              ;   in Loop: Header=BB17_3 Depth=1
	s_delay_alu instid0(SALU_CYCLE_1)
	s_and_not1_b32 vcc_lo, exec_lo, s40
	s_cbranch_vccnz .LBB17_2
; %bb.11:                               ;   in Loop: Header=BB17_3 Depth=1
	v_mul_hi_u32 v0, v2, s6
	s_and_not1_b32 vcc_lo, exec_lo, s4
	s_delay_alu instid0(VALU_DEP_1) | instskip(NEXT) | instid1(VALU_DEP_1)
	v_add_nc_u32_e32 v0, v0, v2
	v_lshrrev_b32_e32 v5, s7, v0
	s_delay_alu instid0(VALU_DEP_1) | instskip(NEXT) | instid1(VALU_DEP_1)
	v_mul_lo_u32 v0, v5, s5
	v_sub_nc_u32_e32 v4, v2, v0
	s_delay_alu instid0(VALU_DEP_1)
	v_mul_lo_u32 v0, v4, s16
	v_mul_lo_u32 v6, v4, s17
	;; [unrolled: 1-line block ×3, first 2 shown]
	s_cbranch_vccnz .LBB17_2
; %bb.12:                               ;   in Loop: Header=BB17_3 Depth=1
	v_mul_hi_u32 v7, s9, v5
	s_delay_alu instid0(VALU_DEP_1) | instskip(NEXT) | instid1(VALU_DEP_1)
	v_add_nc_u32_e32 v7, v5, v7
	v_lshrrev_b32_e32 v7, s10, v7
	s_delay_alu instid0(VALU_DEP_1) | instskip(NEXT) | instid1(VALU_DEP_1)
	v_mul_lo_u32 v7, v7, s8
	v_sub_nc_u32_e32 v10, v5, v7
	s_delay_alu instid0(VALU_DEP_1) | instskip(NEXT) | instid1(VALU_DEP_1)
	v_mad_u64_u32 v[7:8], null, v10, s19, v[0:1]
	v_mad_u64_u32 v[8:9], null, v10, s26, v[6:7]
	;; [unrolled: 1-line block ×3, first 2 shown]
	v_mov_b32_e32 v0, v7
	s_delay_alu instid0(VALU_DEP_3) | instskip(NEXT) | instid1(VALU_DEP_3)
	v_mov_b32_e32 v6, v8
	v_mov_b32_e32 v4, v5
	s_branch .LBB17_2
.LBB17_13:
	s_nop 0
	s_sendmsg sendmsg(MSG_DEALLOC_VGPRS)
	s_endpgm
	.section	.rodata,"a",@progbits
	.p2align	6, 0x0
	.amdhsa_kernel _ZN2at6native12cross_kernelIN3c107complexIfEE16OffsetCalculatorILi3EjLb0EEiEEviPT_PKS7_SA_T0_T1_SC_SC_
		.amdhsa_group_segment_fixed_size 0
		.amdhsa_private_segment_fixed_size 0
		.amdhsa_kernarg_size 688
		.amdhsa_user_sgpr_count 15
		.amdhsa_user_sgpr_dispatch_ptr 0
		.amdhsa_user_sgpr_queue_ptr 0
		.amdhsa_user_sgpr_kernarg_segment_ptr 1
		.amdhsa_user_sgpr_dispatch_id 0
		.amdhsa_user_sgpr_private_segment_size 0
		.amdhsa_wavefront_size32 1
		.amdhsa_uses_dynamic_stack 0
		.amdhsa_enable_private_segment 0
		.amdhsa_system_sgpr_workgroup_id_x 1
		.amdhsa_system_sgpr_workgroup_id_y 0
		.amdhsa_system_sgpr_workgroup_id_z 0
		.amdhsa_system_sgpr_workgroup_info 0
		.amdhsa_system_vgpr_workitem_id 0
		.amdhsa_next_free_vgpr 31
		.amdhsa_next_free_sgpr 52
		.amdhsa_reserve_vcc 1
		.amdhsa_float_round_mode_32 0
		.amdhsa_float_round_mode_16_64 0
		.amdhsa_float_denorm_mode_32 3
		.amdhsa_float_denorm_mode_16_64 3
		.amdhsa_dx10_clamp 1
		.amdhsa_ieee_mode 1
		.amdhsa_fp16_overflow 0
		.amdhsa_workgroup_processor_mode 1
		.amdhsa_memory_ordered 1
		.amdhsa_forward_progress 0
		.amdhsa_shared_vgpr_count 0
		.amdhsa_exception_fp_ieee_invalid_op 0
		.amdhsa_exception_fp_denorm_src 0
		.amdhsa_exception_fp_ieee_div_zero 0
		.amdhsa_exception_fp_ieee_overflow 0
		.amdhsa_exception_fp_ieee_underflow 0
		.amdhsa_exception_fp_ieee_inexact 0
		.amdhsa_exception_int_div_zero 0
	.end_amdhsa_kernel
	.section	.text._ZN2at6native12cross_kernelIN3c107complexIfEE16OffsetCalculatorILi3EjLb0EEiEEviPT_PKS7_SA_T0_T1_SC_SC_,"axG",@progbits,_ZN2at6native12cross_kernelIN3c107complexIfEE16OffsetCalculatorILi3EjLb0EEiEEviPT_PKS7_SA_T0_T1_SC_SC_,comdat
.Lfunc_end17:
	.size	_ZN2at6native12cross_kernelIN3c107complexIfEE16OffsetCalculatorILi3EjLb0EEiEEviPT_PKS7_SA_T0_T1_SC_SC_, .Lfunc_end17-_ZN2at6native12cross_kernelIN3c107complexIfEE16OffsetCalculatorILi3EjLb0EEiEEviPT_PKS7_SA_T0_T1_SC_SC_
                                        ; -- End function
	.section	.AMDGPU.csdata,"",@progbits
; Kernel info:
; codeLenInByte = 1332
; NumSgprs: 54
; NumVgprs: 31
; ScratchSize: 0
; MemoryBound: 0
; FloatMode: 240
; IeeeMode: 1
; LDSByteSize: 0 bytes/workgroup (compile time only)
; SGPRBlocks: 6
; VGPRBlocks: 3
; NumSGPRsForWavesPerEU: 54
; NumVGPRsForWavesPerEU: 31
; Occupancy: 16
; WaveLimiterHint : 1
; COMPUTE_PGM_RSRC2:SCRATCH_EN: 0
; COMPUTE_PGM_RSRC2:USER_SGPR: 15
; COMPUTE_PGM_RSRC2:TRAP_HANDLER: 0
; COMPUTE_PGM_RSRC2:TGID_X_EN: 1
; COMPUTE_PGM_RSRC2:TGID_Y_EN: 0
; COMPUTE_PGM_RSRC2:TGID_Z_EN: 0
; COMPUTE_PGM_RSRC2:TIDIG_COMP_CNT: 0
	.section	.text._ZN2at6native12cross_kernelIN3c104HalfE16OffsetCalculatorILi3EjLb0EElEEviPT_PKS6_S9_T0_T1_SB_SB_,"axG",@progbits,_ZN2at6native12cross_kernelIN3c104HalfE16OffsetCalculatorILi3EjLb0EElEEviPT_PKS6_S9_T0_T1_SB_SB_,comdat
	.protected	_ZN2at6native12cross_kernelIN3c104HalfE16OffsetCalculatorILi3EjLb0EElEEviPT_PKS6_S9_T0_T1_SB_SB_ ; -- Begin function _ZN2at6native12cross_kernelIN3c104HalfE16OffsetCalculatorILi3EjLb0EElEEviPT_PKS6_S9_T0_T1_SB_SB_
	.globl	_ZN2at6native12cross_kernelIN3c104HalfE16OffsetCalculatorILi3EjLb0EElEEviPT_PKS6_S9_T0_T1_SB_SB_
	.p2align	8
	.type	_ZN2at6native12cross_kernelIN3c104HalfE16OffsetCalculatorILi3EjLb0EElEEviPT_PKS6_S9_T0_T1_SB_SB_,@function
_ZN2at6native12cross_kernelIN3c104HalfE16OffsetCalculatorILi3EjLb0EElEEviPT_PKS6_S9_T0_T1_SB_SB_: ; @_ZN2at6native12cross_kernelIN3c104HalfE16OffsetCalculatorILi3EjLb0EElEEviPT_PKS6_S9_T0_T1_SB_SB_
; %bb.0:
	s_clause 0x1
	s_load_b32 s2, s[0:1], 0x0
	s_load_b32 s4, s[0:1], 0x1cc
	v_mov_b32_e32 v1, 0
	s_waitcnt lgkmcnt(0)
	s_ashr_i32 s3, s2, 31
	s_add_u32 s12, s0, 0x1c0
	s_addc_u32 s13, s1, 0
	s_and_b32 s28, s4, 0xffff
	s_mov_b32 s4, exec_lo
	v_mad_u64_u32 v[2:3], null, s28, s15, v[0:1]
	s_delay_alu instid0(VALU_DEP_1)
	v_cmpx_gt_i64_e64 s[2:3], v[2:3]
	s_cbranch_execz .LBB18_13
; %bb.1:
	s_load_b256 s[4:11], s[0:1], 0x20
	s_load_b32 s29, s[12:13], 0x0
	s_clause 0x5
	s_load_b64 s[30:31], s[0:1], 0x1b8
	s_load_b128 s[12:15], s[0:1], 0x8
	s_load_b64 s[24:25], s[0:1], 0x18
	s_load_b128 s[20:23], s[0:1], 0x1a8
	s_load_b128 s[16:19], s[0:1], 0xe4
	s_load_b64 s[26:27], s[0:1], 0xf4
	s_waitcnt lgkmcnt(0)
	s_mov_b32 s11, 0
	s_add_i32 s36, s4, -1
	s_mul_i32 s33, s29, s28
	s_cmp_gt_u32 s36, 1
	s_cselect_b32 s34, -1, 0
	s_cmp_lg_u32 s4, 0
	s_cselect_b32 s35, -1, 0
	s_min_u32 s37, s36, 15
	s_cmp_gt_u32 s4, 1
	s_cselect_b32 s4, -1, 0
	s_add_i32 s36, s37, 1
	s_lshl_b64 s[28:29], s[30:31], 2
	s_and_b32 s36, s36, 30
	s_bitcmp0_b32 s37, 0
	s_cselect_b32 s37, -1, 0
	s_lshl_b64 s[30:31], s[30:31], 1
	s_lshl_b64 s[22:23], s[22:23], 1
	s_sub_u32 s38, 0, s30
	s_subb_u32 s39, 0, s31
	s_lshl_b64 s[20:21], s[20:21], 1
	s_add_u32 s30, s0, 12
	s_addc_u32 s31, s1, 0
	s_branch .LBB18_3
.LBB18_2:                               ;   in Loop: Header=BB18_3 Depth=1
	v_mov_b32_e32 v7, v1
	v_mov_b32_e32 v5, v1
	s_delay_alu instid0(VALU_DEP_2) | instskip(NEXT) | instid1(VALU_DEP_2)
	v_lshlrev_b64 v[6:7], 1, v[6:7]
	v_lshlrev_b64 v[4:5], 1, v[4:5]
	s_delay_alu instid0(VALU_DEP_2) | instskip(NEXT) | instid1(VALU_DEP_3)
	v_add_co_u32 v6, vcc_lo, s14, v6
	v_add_co_ci_u32_e32 v7, vcc_lo, s15, v7, vcc_lo
	s_delay_alu instid0(VALU_DEP_3) | instskip(NEXT) | instid1(VALU_DEP_4)
	v_add_co_u32 v4, vcc_lo, s24, v4
	v_add_co_ci_u32_e32 v5, vcc_lo, s25, v5, vcc_lo
	s_delay_alu instid0(VALU_DEP_4) | instskip(NEXT) | instid1(VALU_DEP_4)
	v_add_co_u32 v8, vcc_lo, v6, s22
	v_add_co_ci_u32_e32 v9, vcc_lo, s23, v7, vcc_lo
	s_delay_alu instid0(VALU_DEP_4) | instskip(NEXT) | instid1(VALU_DEP_4)
	v_add_co_u32 v10, vcc_lo, v4, s28
	v_add_co_ci_u32_e32 v11, vcc_lo, s29, v5, vcc_lo
	global_load_u16 v14, v[8:9], off
	v_add_co_u32 v8, vcc_lo, v8, s22
	v_add_co_ci_u32_e32 v9, vcc_lo, s23, v9, vcc_lo
	v_add_co_u32 v12, vcc_lo, v10, s38
	v_add_co_ci_u32_e32 v13, vcc_lo, s39, v11, vcc_lo
	global_load_u16 v10, v[10:11], off
	s_clause 0x1
	global_load_u16 v11, v[8:9], off
	global_load_u16 v15, v[6:7], off
	s_clause 0x1
	global_load_u16 v16, v[4:5], off
	global_load_u16 v12, v[12:13], off
	v_lshlrev_b64 v[4:5], 1, v[0:1]
	v_add_co_u32 v2, vcc_lo, v2, s33
	v_add_co_ci_u32_e32 v3, vcc_lo, 0, v3, vcc_lo
	s_delay_alu instid0(VALU_DEP_3) | instskip(NEXT) | instid1(VALU_DEP_4)
	v_add_co_u32 v4, vcc_lo, s12, v4
	v_add_co_ci_u32_e32 v5, vcc_lo, s13, v5, vcc_lo
	s_delay_alu instid0(VALU_DEP_3) | instskip(NEXT) | instid1(VALU_DEP_3)
	v_cmp_le_i64_e32 vcc_lo, s[2:3], v[2:3]
	v_add_co_u32 v6, s0, v4, s20
	s_delay_alu instid0(VALU_DEP_1) | instskip(NEXT) | instid1(VALU_DEP_2)
	v_add_co_ci_u32_e64 v7, s0, s21, v5, s0
	v_add_co_u32 v8, s0, v6, s20
	s_delay_alu instid0(VALU_DEP_1)
	v_add_co_ci_u32_e64 v9, s0, s21, v7, s0
	s_or_b32 s11, vcc_lo, s11
	s_waitcnt vmcnt(2)
	v_mul_f16_e32 v0, v10, v15
	s_waitcnt vmcnt(1)
	v_mul_f16_e32 v13, v14, v16
	;; [unrolled: 2-line block ×3, first 2 shown]
	v_fma_f16 v0, v11, v16, -v0
	s_delay_alu instid0(VALU_DEP_3) | instskip(NEXT) | instid1(VALU_DEP_3)
	v_fma_f16 v11, v12, v15, -v13
	v_fma_f16 v10, v14, v10, -v17
	s_clause 0x2
	global_store_b16 v[4:5], v10, off
	global_store_b16 v[6:7], v0, off
	;; [unrolled: 1-line block ×3, first 2 shown]
	s_and_not1_b32 exec_lo, exec_lo, s11
	s_cbranch_execz .LBB18_13
.LBB18_3:                               ; =>This Loop Header: Depth=1
                                        ;     Child Loop BB18_6 Depth 2
	s_and_not1_b32 vcc_lo, exec_lo, s34
	s_cbranch_vccnz .LBB18_9
; %bb.4:                                ;   in Loop: Header=BB18_3 Depth=1
	v_mov_b32_e32 v0, 0
	v_mov_b32_e32 v6, 0
	;; [unrolled: 1-line block ×3, first 2 shown]
	s_and_not1_b32 vcc_lo, exec_lo, s35
	s_mov_b32 s40, 0
	s_cbranch_vccnz .LBB18_10
; %bb.5:                                ;   in Loop: Header=BB18_3 Depth=1
	v_dual_mov_b32 v4, 0 :: v_dual_mov_b32 v5, v2
	v_mov_b32_e32 v6, 0
	s_mov_b32 s41, s36
	s_mov_b64 s[0:1], s[30:31]
	s_delay_alu instid0(VALU_DEP_2)
	v_mov_b32_e32 v0, v4
	s_set_inst_prefetch_distance 0x1
	.p2align	6
.LBB18_6:                               ;   Parent Loop BB18_3 Depth=1
                                        ; =>  This Inner Loop Header: Depth=2
	s_clause 0x2
	s_load_b128 s[44:47], s[0:1], 0x18
	s_load_b64 s[42:43], s[0:1], 0x28
	s_load_b128 s[48:51], s[0:1], 0xd8
	s_waitcnt lgkmcnt(0)
	v_mul_hi_u32 v7, s45, v5
	s_delay_alu instid0(VALU_DEP_1) | instskip(NEXT) | instid1(VALU_DEP_1)
	v_add_nc_u32_e32 v7, v5, v7
	v_lshrrev_b32_e32 v7, s46, v7
	s_delay_alu instid0(VALU_DEP_1)
	v_mul_hi_u32 v8, s42, v7
	v_mul_lo_u32 v9, v7, s44
	s_load_b64 s[44:45], s[0:1], 0xe8
	s_add_u32 s0, s0, 24
	s_addc_u32 s1, s1, 0
	s_add_i32 s41, s41, -2
	s_delay_alu instid0(SALU_CYCLE_1) | instskip(NEXT) | instid1(VALU_DEP_2)
	s_cmp_lg_u32 s41, 0
	v_add_nc_u32_e32 v8, v7, v8
	s_delay_alu instid0(VALU_DEP_2) | instskip(NEXT) | instid1(VALU_DEP_2)
	v_sub_nc_u32_e32 v9, v5, v9
	v_lshrrev_b32_e32 v5, s43, v8
	s_delay_alu instid0(VALU_DEP_2) | instskip(NEXT) | instid1(VALU_DEP_2)
	v_mul_lo_u32 v10, v9, s48
	v_mul_lo_u32 v8, v5, s47
	s_delay_alu instid0(VALU_DEP_1) | instskip(SKIP_2) | instid1(VALU_DEP_3)
	v_sub_nc_u32_e32 v7, v7, v8
	v_mul_lo_u32 v8, v9, s49
	v_mul_lo_u32 v9, v9, s50
	;; [unrolled: 1-line block ×3, first 2 shown]
	s_waitcnt lgkmcnt(0)
	v_mul_lo_u32 v12, v7, s44
	v_mul_lo_u32 v7, v7, s45
	s_delay_alu instid0(VALU_DEP_3) | instskip(NEXT) | instid1(VALU_DEP_3)
	v_add3_u32 v0, v10, v0, v11
	v_add3_u32 v6, v8, v6, v12
	s_delay_alu instid0(VALU_DEP_3)
	v_add3_u32 v4, v9, v4, v7
	s_cbranch_scc1 .LBB18_6
; %bb.7:                                ;   in Loop: Header=BB18_3 Depth=1
	s_set_inst_prefetch_distance 0x2
	s_and_not1_b32 vcc_lo, exec_lo, s37
	s_cbranch_vccnz .LBB18_10
; %bb.8:                                ;   in Loop: Header=BB18_3 Depth=1
	s_clause 0x3
	s_load_b64 s[42:43], s[0:1], 0x18
	s_load_b32 s41, s[0:1], 0x20
	s_load_b64 s[44:45], s[0:1], 0xd8
	s_load_b32 s0, s[0:1], 0xe0
	s_waitcnt lgkmcnt(0)
	v_mul_hi_u32 v7, s43, v5
	s_delay_alu instid0(VALU_DEP_1) | instskip(NEXT) | instid1(VALU_DEP_1)
	v_add_nc_u32_e32 v7, v5, v7
	v_lshrrev_b32_e32 v7, s41, v7
	s_delay_alu instid0(VALU_DEP_1) | instskip(NEXT) | instid1(VALU_DEP_1)
	v_mul_lo_u32 v7, v7, s42
	v_sub_nc_u32_e32 v10, v5, v7
	s_delay_alu instid0(VALU_DEP_1) | instskip(NEXT) | instid1(VALU_DEP_1)
	v_mad_u64_u32 v[7:8], null, v10, s44, v[0:1]
	v_mad_u64_u32 v[8:9], null, v10, s45, v[6:7]
	;; [unrolled: 1-line block ×3, first 2 shown]
	v_mov_b32_e32 v0, v7
	s_delay_alu instid0(VALU_DEP_3) | instskip(NEXT) | instid1(VALU_DEP_3)
	v_mov_b32_e32 v6, v8
	v_mov_b32_e32 v4, v5
	s_branch .LBB18_10
.LBB18_9:                               ;   in Loop: Header=BB18_3 Depth=1
	s_mov_b32 s40, -1
                                        ; implicit-def: $vgpr6
                                        ; implicit-def: $vgpr4
.LBB18_10:                              ;   in Loop: Header=BB18_3 Depth=1
	s_delay_alu instid0(SALU_CYCLE_1)
	s_and_not1_b32 vcc_lo, exec_lo, s40
	s_cbranch_vccnz .LBB18_2
; %bb.11:                               ;   in Loop: Header=BB18_3 Depth=1
	v_mul_hi_u32 v0, v2, s6
	s_and_not1_b32 vcc_lo, exec_lo, s4
	s_delay_alu instid0(VALU_DEP_1) | instskip(NEXT) | instid1(VALU_DEP_1)
	v_add_nc_u32_e32 v0, v0, v2
	v_lshrrev_b32_e32 v5, s7, v0
	s_delay_alu instid0(VALU_DEP_1) | instskip(NEXT) | instid1(VALU_DEP_1)
	v_mul_lo_u32 v0, v5, s5
	v_sub_nc_u32_e32 v4, v2, v0
	s_delay_alu instid0(VALU_DEP_1)
	v_mul_lo_u32 v0, v4, s16
	v_mul_lo_u32 v6, v4, s17
	;; [unrolled: 1-line block ×3, first 2 shown]
	s_cbranch_vccnz .LBB18_2
; %bb.12:                               ;   in Loop: Header=BB18_3 Depth=1
	v_mul_hi_u32 v7, s9, v5
	s_delay_alu instid0(VALU_DEP_1) | instskip(NEXT) | instid1(VALU_DEP_1)
	v_add_nc_u32_e32 v7, v5, v7
	v_lshrrev_b32_e32 v7, s10, v7
	s_delay_alu instid0(VALU_DEP_1) | instskip(NEXT) | instid1(VALU_DEP_1)
	v_mul_lo_u32 v7, v7, s8
	v_sub_nc_u32_e32 v10, v5, v7
	s_delay_alu instid0(VALU_DEP_1) | instskip(NEXT) | instid1(VALU_DEP_1)
	v_mad_u64_u32 v[7:8], null, v10, s19, v[0:1]
	v_mad_u64_u32 v[8:9], null, v10, s26, v[6:7]
	;; [unrolled: 1-line block ×3, first 2 shown]
	v_mov_b32_e32 v0, v7
	s_delay_alu instid0(VALU_DEP_3) | instskip(NEXT) | instid1(VALU_DEP_3)
	v_mov_b32_e32 v6, v8
	v_mov_b32_e32 v4, v5
	s_branch .LBB18_2
.LBB18_13:
	s_nop 0
	s_sendmsg sendmsg(MSG_DEALLOC_VGPRS)
	s_endpgm
	.section	.rodata,"a",@progbits
	.p2align	6, 0x0
	.amdhsa_kernel _ZN2at6native12cross_kernelIN3c104HalfE16OffsetCalculatorILi3EjLb0EElEEviPT_PKS6_S9_T0_T1_SB_SB_
		.amdhsa_group_segment_fixed_size 0
		.amdhsa_private_segment_fixed_size 0
		.amdhsa_kernarg_size 704
		.amdhsa_user_sgpr_count 15
		.amdhsa_user_sgpr_dispatch_ptr 0
		.amdhsa_user_sgpr_queue_ptr 0
		.amdhsa_user_sgpr_kernarg_segment_ptr 1
		.amdhsa_user_sgpr_dispatch_id 0
		.amdhsa_user_sgpr_private_segment_size 0
		.amdhsa_wavefront_size32 1
		.amdhsa_uses_dynamic_stack 0
		.amdhsa_enable_private_segment 0
		.amdhsa_system_sgpr_workgroup_id_x 1
		.amdhsa_system_sgpr_workgroup_id_y 0
		.amdhsa_system_sgpr_workgroup_id_z 0
		.amdhsa_system_sgpr_workgroup_info 0
		.amdhsa_system_vgpr_workitem_id 0
		.amdhsa_next_free_vgpr 18
		.amdhsa_next_free_sgpr 52
		.amdhsa_reserve_vcc 1
		.amdhsa_float_round_mode_32 0
		.amdhsa_float_round_mode_16_64 0
		.amdhsa_float_denorm_mode_32 3
		.amdhsa_float_denorm_mode_16_64 3
		.amdhsa_dx10_clamp 1
		.amdhsa_ieee_mode 1
		.amdhsa_fp16_overflow 0
		.amdhsa_workgroup_processor_mode 1
		.amdhsa_memory_ordered 1
		.amdhsa_forward_progress 0
		.amdhsa_shared_vgpr_count 0
		.amdhsa_exception_fp_ieee_invalid_op 0
		.amdhsa_exception_fp_denorm_src 0
		.amdhsa_exception_fp_ieee_div_zero 0
		.amdhsa_exception_fp_ieee_overflow 0
		.amdhsa_exception_fp_ieee_underflow 0
		.amdhsa_exception_fp_ieee_inexact 0
		.amdhsa_exception_int_div_zero 0
	.end_amdhsa_kernel
	.section	.text._ZN2at6native12cross_kernelIN3c104HalfE16OffsetCalculatorILi3EjLb0EElEEviPT_PKS6_S9_T0_T1_SB_SB_,"axG",@progbits,_ZN2at6native12cross_kernelIN3c104HalfE16OffsetCalculatorILi3EjLb0EElEEviPT_PKS6_S9_T0_T1_SB_SB_,comdat
.Lfunc_end18:
	.size	_ZN2at6native12cross_kernelIN3c104HalfE16OffsetCalculatorILi3EjLb0EElEEviPT_PKS6_S9_T0_T1_SB_SB_, .Lfunc_end18-_ZN2at6native12cross_kernelIN3c104HalfE16OffsetCalculatorILi3EjLb0EElEEviPT_PKS6_S9_T0_T1_SB_SB_
                                        ; -- End function
	.section	.AMDGPU.csdata,"",@progbits
; Kernel info:
; codeLenInByte = 1200
; NumSgprs: 54
; NumVgprs: 18
; ScratchSize: 0
; MemoryBound: 0
; FloatMode: 240
; IeeeMode: 1
; LDSByteSize: 0 bytes/workgroup (compile time only)
; SGPRBlocks: 6
; VGPRBlocks: 2
; NumSGPRsForWavesPerEU: 54
; NumVGPRsForWavesPerEU: 18
; Occupancy: 16
; WaveLimiterHint : 1
; COMPUTE_PGM_RSRC2:SCRATCH_EN: 0
; COMPUTE_PGM_RSRC2:USER_SGPR: 15
; COMPUTE_PGM_RSRC2:TRAP_HANDLER: 0
; COMPUTE_PGM_RSRC2:TGID_X_EN: 1
; COMPUTE_PGM_RSRC2:TGID_Y_EN: 0
; COMPUTE_PGM_RSRC2:TGID_Z_EN: 0
; COMPUTE_PGM_RSRC2:TIDIG_COMP_CNT: 0
	.section	.text._ZN2at6native12cross_kernelIN3c104HalfE16OffsetCalculatorILi3EjLb0EEiEEviPT_PKS6_S9_T0_T1_SB_SB_,"axG",@progbits,_ZN2at6native12cross_kernelIN3c104HalfE16OffsetCalculatorILi3EjLb0EEiEEviPT_PKS6_S9_T0_T1_SB_SB_,comdat
	.protected	_ZN2at6native12cross_kernelIN3c104HalfE16OffsetCalculatorILi3EjLb0EEiEEviPT_PKS6_S9_T0_T1_SB_SB_ ; -- Begin function _ZN2at6native12cross_kernelIN3c104HalfE16OffsetCalculatorILi3EjLb0EEiEEviPT_PKS6_S9_T0_T1_SB_SB_
	.globl	_ZN2at6native12cross_kernelIN3c104HalfE16OffsetCalculatorILi3EjLb0EEiEEviPT_PKS6_S9_T0_T1_SB_SB_
	.p2align	8
	.type	_ZN2at6native12cross_kernelIN3c104HalfE16OffsetCalculatorILi3EjLb0EEiEEviPT_PKS6_S9_T0_T1_SB_SB_,@function
_ZN2at6native12cross_kernelIN3c104HalfE16OffsetCalculatorILi3EjLb0EEiEEviPT_PKS6_S9_T0_T1_SB_SB_: ; @_ZN2at6native12cross_kernelIN3c104HalfE16OffsetCalculatorILi3EjLb0EEiEEviPT_PKS6_S9_T0_T1_SB_SB_
; %bb.0:
	s_clause 0x1
	s_load_b32 s2, s[0:1], 0x0
	s_load_b32 s4, s[0:1], 0x1bc
	v_mov_b32_e32 v1, 0
	s_waitcnt lgkmcnt(0)
	s_ashr_i32 s3, s2, 31
	s_add_u32 s12, s0, 0x1b0
	s_addc_u32 s13, s1, 0
	s_and_b32 s28, s4, 0xffff
	s_mov_b32 s4, exec_lo
	v_mad_u64_u32 v[2:3], null, s28, s15, v[0:1]
	s_delay_alu instid0(VALU_DEP_1)
	v_cmpx_gt_i64_e64 s[2:3], v[2:3]
	s_cbranch_execz .LBB19_13
; %bb.1:
	s_clause 0x1
	s_load_b256 s[4:11], s[0:1], 0x20
	s_load_b128 s[20:23], s[0:1], 0x1a4
	s_waitcnt lgkmcnt(0)
	s_load_b32 s23, s[12:13], 0x0
	s_clause 0x3
	s_load_b128 s[12:15], s[0:1], 0x8
	s_load_b64 s[24:25], s[0:1], 0x18
	s_load_b128 s[16:19], s[0:1], 0xe4
	s_load_b64 s[26:27], s[0:1], 0xf4
	s_mov_b32 s11, 0
	s_add_i32 s29, s4, -1
	s_waitcnt lgkmcnt(0)
	s_mul_i32 s33, s23, s28
	s_cmp_gt_u32 s29, 1
	s_mov_b32 s30, s21
	s_cselect_b32 s34, -1, 0
	s_cmp_lg_u32 s4, 0
	s_cselect_b32 s35, -1, 0
	s_min_u32 s23, s29, 15
	s_cmp_gt_u32 s4, 1
	s_cselect_b32 s4, -1, 0
	s_lshl_b32 s40, s22, 1
	s_add_i32 s28, s23, 1
	s_ashr_i32 s31, s21, 31
	s_ashr_i32 s21, s20, 31
	;; [unrolled: 1-line block ×3, first 2 shown]
	s_and_b32 s36, s28, 30
	s_bitcmp0_b32 s23, 0
	s_cselect_b32 s37, -1, 0
	s_ashr_i32 s23, s22, 31
	s_lshl_b64 s[28:29], s[30:31], 1
	s_lshl_b64 s[22:23], s[22:23], 1
	s_delay_alu instid0(SALU_CYCLE_1)
	s_sub_u32 s38, 0, s22
	s_subb_u32 s39, 0, s23
	s_lshl_b64 s[20:21], s[20:21], 1
	s_add_u32 s22, s0, 12
	s_addc_u32 s23, s1, 0
	s_lshl_b64 s[30:31], s[40:41], 1
	s_branch .LBB19_3
.LBB19_2:                               ;   in Loop: Header=BB19_3 Depth=1
	v_mov_b32_e32 v7, v1
	v_mov_b32_e32 v5, v1
	s_delay_alu instid0(VALU_DEP_2) | instskip(NEXT) | instid1(VALU_DEP_2)
	v_lshlrev_b64 v[6:7], 1, v[6:7]
	v_lshlrev_b64 v[4:5], 1, v[4:5]
	s_delay_alu instid0(VALU_DEP_2) | instskip(NEXT) | instid1(VALU_DEP_3)
	v_add_co_u32 v6, vcc_lo, s14, v6
	v_add_co_ci_u32_e32 v7, vcc_lo, s15, v7, vcc_lo
	s_delay_alu instid0(VALU_DEP_3) | instskip(NEXT) | instid1(VALU_DEP_4)
	v_add_co_u32 v4, vcc_lo, s24, v4
	v_add_co_ci_u32_e32 v5, vcc_lo, s25, v5, vcc_lo
	s_delay_alu instid0(VALU_DEP_4) | instskip(NEXT) | instid1(VALU_DEP_4)
	v_add_co_u32 v8, vcc_lo, v6, s28
	v_add_co_ci_u32_e32 v9, vcc_lo, s29, v7, vcc_lo
	s_delay_alu instid0(VALU_DEP_4) | instskip(NEXT) | instid1(VALU_DEP_4)
	v_add_co_u32 v10, vcc_lo, v4, s30
	v_add_co_ci_u32_e32 v11, vcc_lo, s31, v5, vcc_lo
	global_load_u16 v14, v[8:9], off
	v_add_co_u32 v8, vcc_lo, v8, s28
	v_add_co_ci_u32_e32 v9, vcc_lo, s29, v9, vcc_lo
	v_add_co_u32 v12, vcc_lo, v10, s38
	v_add_co_ci_u32_e32 v13, vcc_lo, s39, v11, vcc_lo
	global_load_u16 v10, v[10:11], off
	s_clause 0x1
	global_load_u16 v11, v[8:9], off
	global_load_u16 v15, v[6:7], off
	s_clause 0x1
	global_load_u16 v16, v[4:5], off
	global_load_u16 v12, v[12:13], off
	v_lshlrev_b64 v[4:5], 1, v[0:1]
	v_add_co_u32 v2, vcc_lo, v2, s33
	v_add_co_ci_u32_e32 v3, vcc_lo, 0, v3, vcc_lo
	s_delay_alu instid0(VALU_DEP_3) | instskip(NEXT) | instid1(VALU_DEP_4)
	v_add_co_u32 v4, vcc_lo, s12, v4
	v_add_co_ci_u32_e32 v5, vcc_lo, s13, v5, vcc_lo
	s_delay_alu instid0(VALU_DEP_3) | instskip(NEXT) | instid1(VALU_DEP_3)
	v_cmp_le_i64_e32 vcc_lo, s[2:3], v[2:3]
	v_add_co_u32 v6, s0, v4, s20
	s_delay_alu instid0(VALU_DEP_1) | instskip(NEXT) | instid1(VALU_DEP_2)
	v_add_co_ci_u32_e64 v7, s0, s21, v5, s0
	v_add_co_u32 v8, s0, v6, s20
	s_delay_alu instid0(VALU_DEP_1)
	v_add_co_ci_u32_e64 v9, s0, s21, v7, s0
	s_or_b32 s11, vcc_lo, s11
	s_waitcnt vmcnt(2)
	v_mul_f16_e32 v0, v10, v15
	s_waitcnt vmcnt(1)
	v_mul_f16_e32 v13, v14, v16
	;; [unrolled: 2-line block ×3, first 2 shown]
	v_fma_f16 v0, v11, v16, -v0
	s_delay_alu instid0(VALU_DEP_3) | instskip(NEXT) | instid1(VALU_DEP_3)
	v_fma_f16 v11, v12, v15, -v13
	v_fma_f16 v10, v14, v10, -v17
	s_clause 0x2
	global_store_b16 v[4:5], v10, off
	global_store_b16 v[6:7], v0, off
	;; [unrolled: 1-line block ×3, first 2 shown]
	s_and_not1_b32 exec_lo, exec_lo, s11
	s_cbranch_execz .LBB19_13
.LBB19_3:                               ; =>This Loop Header: Depth=1
                                        ;     Child Loop BB19_6 Depth 2
	s_and_not1_b32 vcc_lo, exec_lo, s34
	s_cbranch_vccnz .LBB19_9
; %bb.4:                                ;   in Loop: Header=BB19_3 Depth=1
	v_mov_b32_e32 v0, 0
	v_mov_b32_e32 v6, 0
	;; [unrolled: 1-line block ×3, first 2 shown]
	s_and_not1_b32 vcc_lo, exec_lo, s35
	s_mov_b32 s40, 0
	s_cbranch_vccnz .LBB19_10
; %bb.5:                                ;   in Loop: Header=BB19_3 Depth=1
	v_dual_mov_b32 v4, 0 :: v_dual_mov_b32 v5, v2
	v_mov_b32_e32 v6, 0
	s_mov_b32 s41, s36
	s_mov_b64 s[0:1], s[22:23]
	s_delay_alu instid0(VALU_DEP_2)
	v_mov_b32_e32 v0, v4
	s_set_inst_prefetch_distance 0x1
	.p2align	6
.LBB19_6:                               ;   Parent Loop BB19_3 Depth=1
                                        ; =>  This Inner Loop Header: Depth=2
	s_clause 0x2
	s_load_b128 s[44:47], s[0:1], 0x18
	s_load_b64 s[42:43], s[0:1], 0x28
	s_load_b128 s[48:51], s[0:1], 0xd8
	s_waitcnt lgkmcnt(0)
	v_mul_hi_u32 v7, s45, v5
	s_delay_alu instid0(VALU_DEP_1) | instskip(NEXT) | instid1(VALU_DEP_1)
	v_add_nc_u32_e32 v7, v5, v7
	v_lshrrev_b32_e32 v7, s46, v7
	s_delay_alu instid0(VALU_DEP_1)
	v_mul_hi_u32 v8, s42, v7
	v_mul_lo_u32 v9, v7, s44
	s_load_b64 s[44:45], s[0:1], 0xe8
	s_add_u32 s0, s0, 24
	s_addc_u32 s1, s1, 0
	s_add_i32 s41, s41, -2
	s_delay_alu instid0(SALU_CYCLE_1) | instskip(NEXT) | instid1(VALU_DEP_2)
	s_cmp_lg_u32 s41, 0
	v_add_nc_u32_e32 v8, v7, v8
	s_delay_alu instid0(VALU_DEP_2) | instskip(NEXT) | instid1(VALU_DEP_2)
	v_sub_nc_u32_e32 v9, v5, v9
	v_lshrrev_b32_e32 v5, s43, v8
	s_delay_alu instid0(VALU_DEP_2) | instskip(NEXT) | instid1(VALU_DEP_2)
	v_mul_lo_u32 v10, v9, s48
	v_mul_lo_u32 v8, v5, s47
	s_delay_alu instid0(VALU_DEP_1) | instskip(SKIP_2) | instid1(VALU_DEP_3)
	v_sub_nc_u32_e32 v7, v7, v8
	v_mul_lo_u32 v8, v9, s49
	v_mul_lo_u32 v9, v9, s50
	;; [unrolled: 1-line block ×3, first 2 shown]
	s_waitcnt lgkmcnt(0)
	v_mul_lo_u32 v12, v7, s44
	v_mul_lo_u32 v7, v7, s45
	s_delay_alu instid0(VALU_DEP_3) | instskip(NEXT) | instid1(VALU_DEP_3)
	v_add3_u32 v0, v10, v0, v11
	v_add3_u32 v6, v8, v6, v12
	s_delay_alu instid0(VALU_DEP_3)
	v_add3_u32 v4, v9, v4, v7
	s_cbranch_scc1 .LBB19_6
; %bb.7:                                ;   in Loop: Header=BB19_3 Depth=1
	s_set_inst_prefetch_distance 0x2
	s_and_not1_b32 vcc_lo, exec_lo, s37
	s_cbranch_vccnz .LBB19_10
; %bb.8:                                ;   in Loop: Header=BB19_3 Depth=1
	s_clause 0x3
	s_load_b64 s[42:43], s[0:1], 0x18
	s_load_b32 s41, s[0:1], 0x20
	s_load_b64 s[44:45], s[0:1], 0xd8
	s_load_b32 s0, s[0:1], 0xe0
	s_waitcnt lgkmcnt(0)
	v_mul_hi_u32 v7, s43, v5
	s_delay_alu instid0(VALU_DEP_1) | instskip(NEXT) | instid1(VALU_DEP_1)
	v_add_nc_u32_e32 v7, v5, v7
	v_lshrrev_b32_e32 v7, s41, v7
	s_delay_alu instid0(VALU_DEP_1) | instskip(NEXT) | instid1(VALU_DEP_1)
	v_mul_lo_u32 v7, v7, s42
	v_sub_nc_u32_e32 v10, v5, v7
	s_delay_alu instid0(VALU_DEP_1) | instskip(NEXT) | instid1(VALU_DEP_1)
	v_mad_u64_u32 v[7:8], null, v10, s44, v[0:1]
	v_mad_u64_u32 v[8:9], null, v10, s45, v[6:7]
	;; [unrolled: 1-line block ×3, first 2 shown]
	v_mov_b32_e32 v0, v7
	s_delay_alu instid0(VALU_DEP_3) | instskip(NEXT) | instid1(VALU_DEP_3)
	v_mov_b32_e32 v6, v8
	v_mov_b32_e32 v4, v5
	s_branch .LBB19_10
.LBB19_9:                               ;   in Loop: Header=BB19_3 Depth=1
	s_mov_b32 s40, -1
                                        ; implicit-def: $vgpr6
                                        ; implicit-def: $vgpr4
.LBB19_10:                              ;   in Loop: Header=BB19_3 Depth=1
	s_delay_alu instid0(SALU_CYCLE_1)
	s_and_not1_b32 vcc_lo, exec_lo, s40
	s_cbranch_vccnz .LBB19_2
; %bb.11:                               ;   in Loop: Header=BB19_3 Depth=1
	v_mul_hi_u32 v0, v2, s6
	s_and_not1_b32 vcc_lo, exec_lo, s4
	s_delay_alu instid0(VALU_DEP_1) | instskip(NEXT) | instid1(VALU_DEP_1)
	v_add_nc_u32_e32 v0, v0, v2
	v_lshrrev_b32_e32 v5, s7, v0
	s_delay_alu instid0(VALU_DEP_1) | instskip(NEXT) | instid1(VALU_DEP_1)
	v_mul_lo_u32 v0, v5, s5
	v_sub_nc_u32_e32 v4, v2, v0
	s_delay_alu instid0(VALU_DEP_1)
	v_mul_lo_u32 v0, v4, s16
	v_mul_lo_u32 v6, v4, s17
	;; [unrolled: 1-line block ×3, first 2 shown]
	s_cbranch_vccnz .LBB19_2
; %bb.12:                               ;   in Loop: Header=BB19_3 Depth=1
	v_mul_hi_u32 v7, s9, v5
	s_delay_alu instid0(VALU_DEP_1) | instskip(NEXT) | instid1(VALU_DEP_1)
	v_add_nc_u32_e32 v7, v5, v7
	v_lshrrev_b32_e32 v7, s10, v7
	s_delay_alu instid0(VALU_DEP_1) | instskip(NEXT) | instid1(VALU_DEP_1)
	v_mul_lo_u32 v7, v7, s8
	v_sub_nc_u32_e32 v10, v5, v7
	s_delay_alu instid0(VALU_DEP_1) | instskip(NEXT) | instid1(VALU_DEP_1)
	v_mad_u64_u32 v[7:8], null, v10, s19, v[0:1]
	v_mad_u64_u32 v[8:9], null, v10, s26, v[6:7]
	;; [unrolled: 1-line block ×3, first 2 shown]
	v_mov_b32_e32 v0, v7
	s_delay_alu instid0(VALU_DEP_3) | instskip(NEXT) | instid1(VALU_DEP_3)
	v_mov_b32_e32 v6, v8
	v_mov_b32_e32 v4, v5
	s_branch .LBB19_2
.LBB19_13:
	s_nop 0
	s_sendmsg sendmsg(MSG_DEALLOC_VGPRS)
	s_endpgm
	.section	.rodata,"a",@progbits
	.p2align	6, 0x0
	.amdhsa_kernel _ZN2at6native12cross_kernelIN3c104HalfE16OffsetCalculatorILi3EjLb0EEiEEviPT_PKS6_S9_T0_T1_SB_SB_
		.amdhsa_group_segment_fixed_size 0
		.amdhsa_private_segment_fixed_size 0
		.amdhsa_kernarg_size 688
		.amdhsa_user_sgpr_count 15
		.amdhsa_user_sgpr_dispatch_ptr 0
		.amdhsa_user_sgpr_queue_ptr 0
		.amdhsa_user_sgpr_kernarg_segment_ptr 1
		.amdhsa_user_sgpr_dispatch_id 0
		.amdhsa_user_sgpr_private_segment_size 0
		.amdhsa_wavefront_size32 1
		.amdhsa_uses_dynamic_stack 0
		.amdhsa_enable_private_segment 0
		.amdhsa_system_sgpr_workgroup_id_x 1
		.amdhsa_system_sgpr_workgroup_id_y 0
		.amdhsa_system_sgpr_workgroup_id_z 0
		.amdhsa_system_sgpr_workgroup_info 0
		.amdhsa_system_vgpr_workitem_id 0
		.amdhsa_next_free_vgpr 18
		.amdhsa_next_free_sgpr 52
		.amdhsa_reserve_vcc 1
		.amdhsa_float_round_mode_32 0
		.amdhsa_float_round_mode_16_64 0
		.amdhsa_float_denorm_mode_32 3
		.amdhsa_float_denorm_mode_16_64 3
		.amdhsa_dx10_clamp 1
		.amdhsa_ieee_mode 1
		.amdhsa_fp16_overflow 0
		.amdhsa_workgroup_processor_mode 1
		.amdhsa_memory_ordered 1
		.amdhsa_forward_progress 0
		.amdhsa_shared_vgpr_count 0
		.amdhsa_exception_fp_ieee_invalid_op 0
		.amdhsa_exception_fp_denorm_src 0
		.amdhsa_exception_fp_ieee_div_zero 0
		.amdhsa_exception_fp_ieee_overflow 0
		.amdhsa_exception_fp_ieee_underflow 0
		.amdhsa_exception_fp_ieee_inexact 0
		.amdhsa_exception_int_div_zero 0
	.end_amdhsa_kernel
	.section	.text._ZN2at6native12cross_kernelIN3c104HalfE16OffsetCalculatorILi3EjLb0EEiEEviPT_PKS6_S9_T0_T1_SB_SB_,"axG",@progbits,_ZN2at6native12cross_kernelIN3c104HalfE16OffsetCalculatorILi3EjLb0EEiEEviPT_PKS6_S9_T0_T1_SB_SB_,comdat
.Lfunc_end19:
	.size	_ZN2at6native12cross_kernelIN3c104HalfE16OffsetCalculatorILi3EjLb0EEiEEviPT_PKS6_S9_T0_T1_SB_SB_, .Lfunc_end19-_ZN2at6native12cross_kernelIN3c104HalfE16OffsetCalculatorILi3EjLb0EEiEEviPT_PKS6_S9_T0_T1_SB_SB_
                                        ; -- End function
	.section	.AMDGPU.csdata,"",@progbits
; Kernel info:
; codeLenInByte = 1228
; NumSgprs: 54
; NumVgprs: 18
; ScratchSize: 0
; MemoryBound: 0
; FloatMode: 240
; IeeeMode: 1
; LDSByteSize: 0 bytes/workgroup (compile time only)
; SGPRBlocks: 6
; VGPRBlocks: 2
; NumSGPRsForWavesPerEU: 54
; NumVGPRsForWavesPerEU: 18
; Occupancy: 16
; WaveLimiterHint : 1
; COMPUTE_PGM_RSRC2:SCRATCH_EN: 0
; COMPUTE_PGM_RSRC2:USER_SGPR: 15
; COMPUTE_PGM_RSRC2:TRAP_HANDLER: 0
; COMPUTE_PGM_RSRC2:TGID_X_EN: 1
; COMPUTE_PGM_RSRC2:TGID_Y_EN: 0
; COMPUTE_PGM_RSRC2:TGID_Z_EN: 0
; COMPUTE_PGM_RSRC2:TIDIG_COMP_CNT: 0
	.section	.text._ZN2at6native12cross_kernelIN3c108BFloat16E16OffsetCalculatorILi3EjLb0EElEEviPT_PKS6_S9_T0_T1_SB_SB_,"axG",@progbits,_ZN2at6native12cross_kernelIN3c108BFloat16E16OffsetCalculatorILi3EjLb0EElEEviPT_PKS6_S9_T0_T1_SB_SB_,comdat
	.protected	_ZN2at6native12cross_kernelIN3c108BFloat16E16OffsetCalculatorILi3EjLb0EElEEviPT_PKS6_S9_T0_T1_SB_SB_ ; -- Begin function _ZN2at6native12cross_kernelIN3c108BFloat16E16OffsetCalculatorILi3EjLb0EElEEviPT_PKS6_S9_T0_T1_SB_SB_
	.globl	_ZN2at6native12cross_kernelIN3c108BFloat16E16OffsetCalculatorILi3EjLb0EElEEviPT_PKS6_S9_T0_T1_SB_SB_
	.p2align	8
	.type	_ZN2at6native12cross_kernelIN3c108BFloat16E16OffsetCalculatorILi3EjLb0EElEEviPT_PKS6_S9_T0_T1_SB_SB_,@function
_ZN2at6native12cross_kernelIN3c108BFloat16E16OffsetCalculatorILi3EjLb0EElEEviPT_PKS6_S9_T0_T1_SB_SB_: ; @_ZN2at6native12cross_kernelIN3c108BFloat16E16OffsetCalculatorILi3EjLb0EElEEviPT_PKS6_S9_T0_T1_SB_SB_
; %bb.0:
	s_clause 0x1
	s_load_b32 s2, s[0:1], 0x0
	s_load_b32 s4, s[0:1], 0x1cc
	v_mov_b32_e32 v1, 0
	s_waitcnt lgkmcnt(0)
	s_ashr_i32 s3, s2, 31
	s_add_u32 s12, s0, 0x1c0
	s_addc_u32 s13, s1, 0
	s_and_b32 s28, s4, 0xffff
	s_mov_b32 s4, exec_lo
	v_mad_u64_u32 v[2:3], null, s28, s15, v[0:1]
	s_delay_alu instid0(VALU_DEP_1)
	v_cmpx_gt_i64_e64 s[2:3], v[2:3]
	s_cbranch_execz .LBB20_13
; %bb.1:
	s_load_b256 s[4:11], s[0:1], 0x20
	s_load_b32 s29, s[12:13], 0x0
	s_clause 0x5
	s_load_b64 s[30:31], s[0:1], 0x1b8
	s_load_b128 s[12:15], s[0:1], 0x8
	s_load_b64 s[24:25], s[0:1], 0x18
	s_load_b128 s[20:23], s[0:1], 0x1a8
	s_load_b128 s[16:19], s[0:1], 0xe4
	s_load_b64 s[26:27], s[0:1], 0xf4
	s_waitcnt lgkmcnt(0)
	s_mov_b32 s11, 0
	s_add_i32 s36, s4, -1
	s_mul_i32 s33, s29, s28
	s_cmp_gt_u32 s36, 1
	s_cselect_b32 s34, -1, 0
	s_cmp_lg_u32 s4, 0
	s_cselect_b32 s35, -1, 0
	s_min_u32 s37, s36, 15
	s_cmp_gt_u32 s4, 1
	s_cselect_b32 s4, -1, 0
	s_add_i32 s36, s37, 1
	s_lshl_b64 s[28:29], s[30:31], 2
	s_and_b32 s36, s36, 30
	s_bitcmp0_b32 s37, 0
	s_cselect_b32 s37, -1, 0
	s_lshl_b64 s[30:31], s[30:31], 1
	s_lshl_b64 s[22:23], s[22:23], 1
	s_sub_u32 s38, 0, s30
	s_subb_u32 s39, 0, s31
	s_lshl_b64 s[20:21], s[20:21], 1
	s_add_u32 s30, s0, 12
	s_addc_u32 s31, s1, 0
	s_branch .LBB20_3
.LBB20_2:                               ;   in Loop: Header=BB20_3 Depth=1
	v_mov_b32_e32 v5, v1
	v_mov_b32_e32 v7, v1
	s_delay_alu instid0(VALU_DEP_2) | instskip(NEXT) | instid1(VALU_DEP_2)
	v_lshlrev_b64 v[4:5], 1, v[4:5]
	v_lshlrev_b64 v[6:7], 1, v[6:7]
	s_delay_alu instid0(VALU_DEP_2) | instskip(NEXT) | instid1(VALU_DEP_3)
	v_add_co_u32 v4, vcc_lo, s24, v4
	v_add_co_ci_u32_e32 v5, vcc_lo, s25, v5, vcc_lo
	s_delay_alu instid0(VALU_DEP_3) | instskip(NEXT) | instid1(VALU_DEP_4)
	v_add_co_u32 v6, vcc_lo, s14, v6
	v_add_co_ci_u32_e32 v7, vcc_lo, s15, v7, vcc_lo
	s_delay_alu instid0(VALU_DEP_4) | instskip(NEXT) | instid1(VALU_DEP_4)
	v_add_co_u32 v8, vcc_lo, v4, s28
	v_add_co_ci_u32_e32 v9, vcc_lo, s29, v5, vcc_lo
	s_delay_alu instid0(VALU_DEP_4) | instskip(NEXT) | instid1(VALU_DEP_4)
	v_add_co_u32 v10, vcc_lo, v6, s22
	v_add_co_ci_u32_e32 v11, vcc_lo, s23, v7, vcc_lo
	global_load_u16 v14, v[8:9], off
	v_add_co_u32 v12, vcc_lo, v10, s22
	v_add_co_ci_u32_e32 v13, vcc_lo, s23, v11, vcc_lo
	v_add_co_u32 v8, vcc_lo, v8, s38
	v_add_co_ci_u32_e32 v9, vcc_lo, s39, v9, vcc_lo
	s_clause 0x1
	global_load_u16 v10, v[10:11], off
	global_load_u16 v6, v[6:7], off
	;; [unrolled: 1-line block ×5, first 2 shown]
	v_add_co_u32 v2, vcc_lo, v2, s33
	v_add_co_ci_u32_e32 v3, vcc_lo, 0, v3, vcc_lo
	s_waitcnt vmcnt(5)
	v_lshlrev_b32_e32 v8, 16, v14
	s_waitcnt vmcnt(3)
	v_lshlrev_b32_e32 v6, 16, v6
	v_lshlrev_b32_e32 v9, 16, v10
	s_waitcnt vmcnt(1)
	v_lshlrev_b32_e32 v5, 16, v5
	v_lshlrev_b32_e32 v4, 16, v4
	s_waitcnt vmcnt(0)
	v_dual_mul_f32 v10, v9, v8 :: v_dual_lshlrev_b32 v7, 16, v7
	v_mul_f32_e32 v8, v6, v8
	s_delay_alu instid0(VALU_DEP_3) | instskip(NEXT) | instid1(VALU_DEP_3)
	v_dual_mul_f32 v9, v9, v4 :: v_dual_mul_f32 v4, v4, v5
	v_bfe_u32 v11, v10, 16, 1
	s_delay_alu instid0(VALU_DEP_4) | instskip(NEXT) | instid1(VALU_DEP_4)
	v_mul_f32_e32 v12, v7, v5
	v_bfe_u32 v5, v8, 16, 1
	v_cmp_o_f32_e32 vcc_lo, v10, v10
	v_bfe_u32 v14, v4, 16, 1
	v_add3_u32 v11, v10, v11, 0x7fff
	v_mul_f32_e32 v6, v7, v6
	v_bfe_u32 v7, v9, 16, 1
	v_add3_u32 v5, v8, v5, 0x7fff
	v_bfe_u32 v13, v12, 16, 1
	v_and_b32_e32 v11, 0xffff0000, v11
	v_bfe_u32 v15, v6, 16, 1
	v_add3_u32 v7, v9, v7, 0x7fff
	v_and_b32_e32 v5, 0xffff0000, v5
	v_add3_u32 v13, v12, v13, 0x7fff
	v_cndmask_b32_e32 v10, 0x7fc00000, v11, vcc_lo
	v_cmp_o_f32_e32 vcc_lo, v8, v8
	v_and_b32_e32 v7, 0xffff0000, v7
	v_add3_u32 v14, v4, v14, 0x7fff
	v_and_b32_e32 v13, 0xffff0000, v13
	v_add3_u32 v15, v6, v15, 0x7fff
	v_cndmask_b32_e32 v8, 0x7fc00000, v5, vcc_lo
	v_cmp_o_f32_e32 vcc_lo, v9, v9
	v_and_b32_e32 v11, 0xffff0000, v14
	s_delay_alu instid0(VALU_DEP_4) | instskip(SKIP_4) | instid1(VALU_DEP_2)
	v_and_b32_e32 v5, 0xffff0000, v15
	v_cndmask_b32_e32 v7, 0x7fc00000, v7, vcc_lo
	v_cmp_o_f32_e32 vcc_lo, v12, v12
	v_cndmask_b32_e32 v9, 0x7fc00000, v13, vcc_lo
	v_cmp_o_f32_e32 vcc_lo, v4, v4
	v_dual_sub_f32 v10, v10, v9 :: v_dual_cndmask_b32 v11, 0x7fc00000, v11
	v_cmp_o_f32_e32 vcc_lo, v6, v6
	v_cndmask_b32_e32 v6, 0x7fc00000, v5, vcc_lo
	v_lshlrev_b64 v[4:5], 1, v[0:1]
	s_delay_alu instid0(VALU_DEP_4) | instskip(SKIP_1) | instid1(VALU_DEP_4)
	v_sub_f32_e32 v0, v11, v8
	v_cmp_le_i64_e32 vcc_lo, s[2:3], v[2:3]
	v_sub_f32_e32 v11, v6, v7
	v_bfe_u32 v6, v10, 16, 1
	v_add_co_u32 v4, s0, s12, v4
	s_delay_alu instid0(VALU_DEP_1) | instskip(SKIP_1) | instid1(VALU_DEP_4)
	v_add_co_ci_u32_e64 v5, s0, s13, v5, s0
	v_bfe_u32 v8, v0, 16, 1
	v_add3_u32 v12, v10, v6, 0x7fff
	s_delay_alu instid0(VALU_DEP_4) | instskip(SKIP_3) | instid1(VALU_DEP_4)
	v_add_co_u32 v6, s0, v4, s20
	v_bfe_u32 v9, v11, 16, 1
	v_add_co_ci_u32_e64 v7, s0, s21, v5, s0
	v_add3_u32 v13, v0, v8, 0x7fff
	v_add_co_u32 v8, s0, v6, s20
	s_delay_alu instid0(VALU_DEP_4) | instskip(NEXT) | instid1(VALU_DEP_4)
	v_add3_u32 v14, v11, v9, 0x7fff
	v_add_co_ci_u32_e64 v9, s0, s21, v7, s0
	v_lshrrev_b32_e32 v12, 16, v12
	v_cmp_o_f32_e64 s0, v10, v10
	v_lshrrev_b32_e32 v13, 16, v13
	v_lshrrev_b32_e32 v14, 16, v14
	s_or_b32 s11, vcc_lo, s11
	s_delay_alu instid0(VALU_DEP_3) | instskip(SKIP_1) | instid1(VALU_DEP_1)
	v_cndmask_b32_e64 v10, 0x7fc0, v12, s0
	v_cmp_o_f32_e64 s0, v0, v0
	v_cndmask_b32_e64 v0, 0x7fc0, v13, s0
	v_cmp_o_f32_e64 s0, v11, v11
	s_delay_alu instid0(VALU_DEP_1)
	v_cndmask_b32_e64 v11, 0x7fc0, v14, s0
	s_clause 0x2
	global_store_b16 v[4:5], v10, off
	global_store_b16 v[6:7], v0, off
	;; [unrolled: 1-line block ×3, first 2 shown]
	s_and_not1_b32 exec_lo, exec_lo, s11
	s_cbranch_execz .LBB20_13
.LBB20_3:                               ; =>This Loop Header: Depth=1
                                        ;     Child Loop BB20_6 Depth 2
	s_and_not1_b32 vcc_lo, exec_lo, s34
	s_cbranch_vccnz .LBB20_9
; %bb.4:                                ;   in Loop: Header=BB20_3 Depth=1
	v_mov_b32_e32 v0, 0
	v_mov_b32_e32 v6, 0
	;; [unrolled: 1-line block ×3, first 2 shown]
	s_and_not1_b32 vcc_lo, exec_lo, s35
	s_mov_b32 s40, 0
	s_cbranch_vccnz .LBB20_10
; %bb.5:                                ;   in Loop: Header=BB20_3 Depth=1
	v_dual_mov_b32 v4, 0 :: v_dual_mov_b32 v5, v2
	v_mov_b32_e32 v6, 0
	s_mov_b32 s41, s36
	s_mov_b64 s[0:1], s[30:31]
	s_delay_alu instid0(VALU_DEP_2)
	v_mov_b32_e32 v0, v4
	s_set_inst_prefetch_distance 0x1
	.p2align	6
.LBB20_6:                               ;   Parent Loop BB20_3 Depth=1
                                        ; =>  This Inner Loop Header: Depth=2
	s_clause 0x2
	s_load_b128 s[44:47], s[0:1], 0x18
	s_load_b64 s[42:43], s[0:1], 0x28
	s_load_b128 s[48:51], s[0:1], 0xd8
	s_waitcnt lgkmcnt(0)
	v_mul_hi_u32 v7, s45, v5
	s_delay_alu instid0(VALU_DEP_1) | instskip(NEXT) | instid1(VALU_DEP_1)
	v_add_nc_u32_e32 v7, v5, v7
	v_lshrrev_b32_e32 v7, s46, v7
	s_delay_alu instid0(VALU_DEP_1)
	v_mul_hi_u32 v8, s42, v7
	v_mul_lo_u32 v9, v7, s44
	s_load_b64 s[44:45], s[0:1], 0xe8
	s_add_u32 s0, s0, 24
	s_addc_u32 s1, s1, 0
	s_add_i32 s41, s41, -2
	s_delay_alu instid0(SALU_CYCLE_1) | instskip(NEXT) | instid1(VALU_DEP_2)
	s_cmp_lg_u32 s41, 0
	v_add_nc_u32_e32 v8, v7, v8
	s_delay_alu instid0(VALU_DEP_2) | instskip(NEXT) | instid1(VALU_DEP_2)
	v_sub_nc_u32_e32 v9, v5, v9
	v_lshrrev_b32_e32 v5, s43, v8
	s_delay_alu instid0(VALU_DEP_2) | instskip(NEXT) | instid1(VALU_DEP_2)
	v_mul_lo_u32 v10, v9, s48
	v_mul_lo_u32 v8, v5, s47
	s_delay_alu instid0(VALU_DEP_1) | instskip(SKIP_2) | instid1(VALU_DEP_3)
	v_sub_nc_u32_e32 v7, v7, v8
	v_mul_lo_u32 v8, v9, s49
	v_mul_lo_u32 v9, v9, s50
	;; [unrolled: 1-line block ×3, first 2 shown]
	s_waitcnt lgkmcnt(0)
	v_mul_lo_u32 v12, v7, s44
	v_mul_lo_u32 v7, v7, s45
	s_delay_alu instid0(VALU_DEP_3) | instskip(NEXT) | instid1(VALU_DEP_3)
	v_add3_u32 v0, v10, v0, v11
	v_add3_u32 v6, v8, v6, v12
	s_delay_alu instid0(VALU_DEP_3)
	v_add3_u32 v4, v9, v4, v7
	s_cbranch_scc1 .LBB20_6
; %bb.7:                                ;   in Loop: Header=BB20_3 Depth=1
	s_set_inst_prefetch_distance 0x2
	s_and_not1_b32 vcc_lo, exec_lo, s37
	s_cbranch_vccnz .LBB20_10
; %bb.8:                                ;   in Loop: Header=BB20_3 Depth=1
	s_clause 0x3
	s_load_b64 s[42:43], s[0:1], 0x18
	s_load_b32 s41, s[0:1], 0x20
	s_load_b64 s[44:45], s[0:1], 0xd8
	s_load_b32 s0, s[0:1], 0xe0
	s_waitcnt lgkmcnt(0)
	v_mul_hi_u32 v7, s43, v5
	s_delay_alu instid0(VALU_DEP_1) | instskip(NEXT) | instid1(VALU_DEP_1)
	v_add_nc_u32_e32 v7, v5, v7
	v_lshrrev_b32_e32 v7, s41, v7
	s_delay_alu instid0(VALU_DEP_1) | instskip(NEXT) | instid1(VALU_DEP_1)
	v_mul_lo_u32 v7, v7, s42
	v_sub_nc_u32_e32 v10, v5, v7
	s_delay_alu instid0(VALU_DEP_1) | instskip(NEXT) | instid1(VALU_DEP_1)
	v_mad_u64_u32 v[7:8], null, v10, s44, v[0:1]
	v_mad_u64_u32 v[8:9], null, v10, s45, v[6:7]
	;; [unrolled: 1-line block ×3, first 2 shown]
	v_mov_b32_e32 v0, v7
	s_delay_alu instid0(VALU_DEP_3) | instskip(NEXT) | instid1(VALU_DEP_3)
	v_mov_b32_e32 v6, v8
	v_mov_b32_e32 v4, v5
	s_branch .LBB20_10
.LBB20_9:                               ;   in Loop: Header=BB20_3 Depth=1
	s_mov_b32 s40, -1
                                        ; implicit-def: $vgpr6
                                        ; implicit-def: $vgpr4
.LBB20_10:                              ;   in Loop: Header=BB20_3 Depth=1
	s_delay_alu instid0(SALU_CYCLE_1)
	s_and_not1_b32 vcc_lo, exec_lo, s40
	s_cbranch_vccnz .LBB20_2
; %bb.11:                               ;   in Loop: Header=BB20_3 Depth=1
	v_mul_hi_u32 v0, v2, s6
	s_and_not1_b32 vcc_lo, exec_lo, s4
	s_delay_alu instid0(VALU_DEP_1) | instskip(NEXT) | instid1(VALU_DEP_1)
	v_add_nc_u32_e32 v0, v0, v2
	v_lshrrev_b32_e32 v5, s7, v0
	s_delay_alu instid0(VALU_DEP_1) | instskip(NEXT) | instid1(VALU_DEP_1)
	v_mul_lo_u32 v0, v5, s5
	v_sub_nc_u32_e32 v4, v2, v0
	s_delay_alu instid0(VALU_DEP_1)
	v_mul_lo_u32 v0, v4, s16
	v_mul_lo_u32 v6, v4, s17
	;; [unrolled: 1-line block ×3, first 2 shown]
	s_cbranch_vccnz .LBB20_2
; %bb.12:                               ;   in Loop: Header=BB20_3 Depth=1
	v_mul_hi_u32 v7, s9, v5
	s_delay_alu instid0(VALU_DEP_1) | instskip(NEXT) | instid1(VALU_DEP_1)
	v_add_nc_u32_e32 v7, v5, v7
	v_lshrrev_b32_e32 v7, s10, v7
	s_delay_alu instid0(VALU_DEP_1) | instskip(NEXT) | instid1(VALU_DEP_1)
	v_mul_lo_u32 v7, v7, s8
	v_sub_nc_u32_e32 v10, v5, v7
	s_delay_alu instid0(VALU_DEP_1) | instskip(NEXT) | instid1(VALU_DEP_1)
	v_mad_u64_u32 v[7:8], null, v10, s19, v[0:1]
	v_mad_u64_u32 v[8:9], null, v10, s26, v[6:7]
	;; [unrolled: 1-line block ×3, first 2 shown]
	v_mov_b32_e32 v0, v7
	s_delay_alu instid0(VALU_DEP_3) | instskip(NEXT) | instid1(VALU_DEP_3)
	v_mov_b32_e32 v6, v8
	v_mov_b32_e32 v4, v5
	s_branch .LBB20_2
.LBB20_13:
	s_nop 0
	s_sendmsg sendmsg(MSG_DEALLOC_VGPRS)
	s_endpgm
	.section	.rodata,"a",@progbits
	.p2align	6, 0x0
	.amdhsa_kernel _ZN2at6native12cross_kernelIN3c108BFloat16E16OffsetCalculatorILi3EjLb0EElEEviPT_PKS6_S9_T0_T1_SB_SB_
		.amdhsa_group_segment_fixed_size 0
		.amdhsa_private_segment_fixed_size 0
		.amdhsa_kernarg_size 704
		.amdhsa_user_sgpr_count 15
		.amdhsa_user_sgpr_dispatch_ptr 0
		.amdhsa_user_sgpr_queue_ptr 0
		.amdhsa_user_sgpr_kernarg_segment_ptr 1
		.amdhsa_user_sgpr_dispatch_id 0
		.amdhsa_user_sgpr_private_segment_size 0
		.amdhsa_wavefront_size32 1
		.amdhsa_uses_dynamic_stack 0
		.amdhsa_enable_private_segment 0
		.amdhsa_system_sgpr_workgroup_id_x 1
		.amdhsa_system_sgpr_workgroup_id_y 0
		.amdhsa_system_sgpr_workgroup_id_z 0
		.amdhsa_system_sgpr_workgroup_info 0
		.amdhsa_system_vgpr_workitem_id 0
		.amdhsa_next_free_vgpr 16
		.amdhsa_next_free_sgpr 52
		.amdhsa_reserve_vcc 1
		.amdhsa_float_round_mode_32 0
		.amdhsa_float_round_mode_16_64 0
		.amdhsa_float_denorm_mode_32 3
		.amdhsa_float_denorm_mode_16_64 3
		.amdhsa_dx10_clamp 1
		.amdhsa_ieee_mode 1
		.amdhsa_fp16_overflow 0
		.amdhsa_workgroup_processor_mode 1
		.amdhsa_memory_ordered 1
		.amdhsa_forward_progress 0
		.amdhsa_shared_vgpr_count 0
		.amdhsa_exception_fp_ieee_invalid_op 0
		.amdhsa_exception_fp_denorm_src 0
		.amdhsa_exception_fp_ieee_div_zero 0
		.amdhsa_exception_fp_ieee_overflow 0
		.amdhsa_exception_fp_ieee_underflow 0
		.amdhsa_exception_fp_ieee_inexact 0
		.amdhsa_exception_int_div_zero 0
	.end_amdhsa_kernel
	.section	.text._ZN2at6native12cross_kernelIN3c108BFloat16E16OffsetCalculatorILi3EjLb0EElEEviPT_PKS6_S9_T0_T1_SB_SB_,"axG",@progbits,_ZN2at6native12cross_kernelIN3c108BFloat16E16OffsetCalculatorILi3EjLb0EElEEviPT_PKS6_S9_T0_T1_SB_SB_,comdat
.Lfunc_end20:
	.size	_ZN2at6native12cross_kernelIN3c108BFloat16E16OffsetCalculatorILi3EjLb0EElEEviPT_PKS6_S9_T0_T1_SB_SB_, .Lfunc_end20-_ZN2at6native12cross_kernelIN3c108BFloat16E16OffsetCalculatorILi3EjLb0EElEEviPT_PKS6_S9_T0_T1_SB_SB_
                                        ; -- End function
	.section	.AMDGPU.csdata,"",@progbits
; Kernel info:
; codeLenInByte = 1616
; NumSgprs: 54
; NumVgprs: 16
; ScratchSize: 0
; MemoryBound: 0
; FloatMode: 240
; IeeeMode: 1
; LDSByteSize: 0 bytes/workgroup (compile time only)
; SGPRBlocks: 6
; VGPRBlocks: 1
; NumSGPRsForWavesPerEU: 54
; NumVGPRsForWavesPerEU: 16
; Occupancy: 16
; WaveLimiterHint : 1
; COMPUTE_PGM_RSRC2:SCRATCH_EN: 0
; COMPUTE_PGM_RSRC2:USER_SGPR: 15
; COMPUTE_PGM_RSRC2:TRAP_HANDLER: 0
; COMPUTE_PGM_RSRC2:TGID_X_EN: 1
; COMPUTE_PGM_RSRC2:TGID_Y_EN: 0
; COMPUTE_PGM_RSRC2:TGID_Z_EN: 0
; COMPUTE_PGM_RSRC2:TIDIG_COMP_CNT: 0
	.section	.text._ZN2at6native12cross_kernelIN3c108BFloat16E16OffsetCalculatorILi3EjLb0EEiEEviPT_PKS6_S9_T0_T1_SB_SB_,"axG",@progbits,_ZN2at6native12cross_kernelIN3c108BFloat16E16OffsetCalculatorILi3EjLb0EEiEEviPT_PKS6_S9_T0_T1_SB_SB_,comdat
	.protected	_ZN2at6native12cross_kernelIN3c108BFloat16E16OffsetCalculatorILi3EjLb0EEiEEviPT_PKS6_S9_T0_T1_SB_SB_ ; -- Begin function _ZN2at6native12cross_kernelIN3c108BFloat16E16OffsetCalculatorILi3EjLb0EEiEEviPT_PKS6_S9_T0_T1_SB_SB_
	.globl	_ZN2at6native12cross_kernelIN3c108BFloat16E16OffsetCalculatorILi3EjLb0EEiEEviPT_PKS6_S9_T0_T1_SB_SB_
	.p2align	8
	.type	_ZN2at6native12cross_kernelIN3c108BFloat16E16OffsetCalculatorILi3EjLb0EEiEEviPT_PKS6_S9_T0_T1_SB_SB_,@function
_ZN2at6native12cross_kernelIN3c108BFloat16E16OffsetCalculatorILi3EjLb0EEiEEviPT_PKS6_S9_T0_T1_SB_SB_: ; @_ZN2at6native12cross_kernelIN3c108BFloat16E16OffsetCalculatorILi3EjLb0EEiEEviPT_PKS6_S9_T0_T1_SB_SB_
; %bb.0:
	s_clause 0x1
	s_load_b32 s2, s[0:1], 0x0
	s_load_b32 s4, s[0:1], 0x1bc
	v_mov_b32_e32 v1, 0
	s_waitcnt lgkmcnt(0)
	s_ashr_i32 s3, s2, 31
	s_add_u32 s12, s0, 0x1b0
	s_addc_u32 s13, s1, 0
	s_and_b32 s28, s4, 0xffff
	s_mov_b32 s4, exec_lo
	v_mad_u64_u32 v[2:3], null, s28, s15, v[0:1]
	s_delay_alu instid0(VALU_DEP_1)
	v_cmpx_gt_i64_e64 s[2:3], v[2:3]
	s_cbranch_execz .LBB21_13
; %bb.1:
	s_clause 0x1
	s_load_b256 s[4:11], s[0:1], 0x20
	s_load_b128 s[20:23], s[0:1], 0x1a4
	s_waitcnt lgkmcnt(0)
	s_load_b32 s23, s[12:13], 0x0
	s_clause 0x3
	s_load_b128 s[12:15], s[0:1], 0x8
	s_load_b64 s[24:25], s[0:1], 0x18
	s_load_b128 s[16:19], s[0:1], 0xe4
	s_load_b64 s[26:27], s[0:1], 0xf4
	s_mov_b32 s11, 0
	s_add_i32 s29, s4, -1
	s_waitcnt lgkmcnt(0)
	s_mul_i32 s33, s23, s28
	s_cmp_gt_u32 s29, 1
	s_mov_b32 s30, s21
	s_cselect_b32 s34, -1, 0
	s_cmp_lg_u32 s4, 0
	s_cselect_b32 s35, -1, 0
	s_min_u32 s23, s29, 15
	s_cmp_gt_u32 s4, 1
	s_cselect_b32 s4, -1, 0
	s_lshl_b32 s40, s22, 1
	s_add_i32 s28, s23, 1
	s_ashr_i32 s31, s21, 31
	s_ashr_i32 s21, s20, 31
	;; [unrolled: 1-line block ×3, first 2 shown]
	s_and_b32 s36, s28, 30
	s_bitcmp0_b32 s23, 0
	s_cselect_b32 s37, -1, 0
	s_ashr_i32 s23, s22, 31
	s_lshl_b64 s[28:29], s[30:31], 1
	s_lshl_b64 s[22:23], s[22:23], 1
	s_delay_alu instid0(SALU_CYCLE_1)
	s_sub_u32 s38, 0, s22
	s_subb_u32 s39, 0, s23
	s_lshl_b64 s[20:21], s[20:21], 1
	s_add_u32 s22, s0, 12
	s_addc_u32 s23, s1, 0
	s_lshl_b64 s[30:31], s[40:41], 1
	s_branch .LBB21_3
.LBB21_2:                               ;   in Loop: Header=BB21_3 Depth=1
	v_mov_b32_e32 v5, v1
	v_mov_b32_e32 v7, v1
	s_delay_alu instid0(VALU_DEP_2) | instskip(NEXT) | instid1(VALU_DEP_2)
	v_lshlrev_b64 v[4:5], 1, v[4:5]
	v_lshlrev_b64 v[6:7], 1, v[6:7]
	s_delay_alu instid0(VALU_DEP_2) | instskip(NEXT) | instid1(VALU_DEP_3)
	v_add_co_u32 v4, vcc_lo, s24, v4
	v_add_co_ci_u32_e32 v5, vcc_lo, s25, v5, vcc_lo
	s_delay_alu instid0(VALU_DEP_3) | instskip(NEXT) | instid1(VALU_DEP_4)
	v_add_co_u32 v6, vcc_lo, s14, v6
	v_add_co_ci_u32_e32 v7, vcc_lo, s15, v7, vcc_lo
	s_delay_alu instid0(VALU_DEP_4) | instskip(NEXT) | instid1(VALU_DEP_4)
	v_add_co_u32 v8, vcc_lo, v4, s30
	v_add_co_ci_u32_e32 v9, vcc_lo, s31, v5, vcc_lo
	s_delay_alu instid0(VALU_DEP_4) | instskip(NEXT) | instid1(VALU_DEP_4)
	v_add_co_u32 v10, vcc_lo, v6, s28
	v_add_co_ci_u32_e32 v11, vcc_lo, s29, v7, vcc_lo
	global_load_u16 v14, v[8:9], off
	v_add_co_u32 v12, vcc_lo, v10, s28
	v_add_co_ci_u32_e32 v13, vcc_lo, s29, v11, vcc_lo
	v_add_co_u32 v8, vcc_lo, v8, s38
	v_add_co_ci_u32_e32 v9, vcc_lo, s39, v9, vcc_lo
	s_clause 0x1
	global_load_u16 v10, v[10:11], off
	global_load_u16 v6, v[6:7], off
	;; [unrolled: 1-line block ×5, first 2 shown]
	v_add_co_u32 v2, vcc_lo, v2, s33
	v_add_co_ci_u32_e32 v3, vcc_lo, 0, v3, vcc_lo
	s_waitcnt vmcnt(5)
	v_lshlrev_b32_e32 v8, 16, v14
	s_waitcnt vmcnt(3)
	v_lshlrev_b32_e32 v6, 16, v6
	v_lshlrev_b32_e32 v9, 16, v10
	s_waitcnt vmcnt(1)
	v_lshlrev_b32_e32 v5, 16, v5
	v_lshlrev_b32_e32 v4, 16, v4
	s_waitcnt vmcnt(0)
	v_dual_mul_f32 v10, v9, v8 :: v_dual_lshlrev_b32 v7, 16, v7
	v_mul_f32_e32 v8, v6, v8
	s_delay_alu instid0(VALU_DEP_3) | instskip(NEXT) | instid1(VALU_DEP_3)
	v_dual_mul_f32 v9, v9, v4 :: v_dual_mul_f32 v4, v4, v5
	v_bfe_u32 v11, v10, 16, 1
	s_delay_alu instid0(VALU_DEP_4) | instskip(NEXT) | instid1(VALU_DEP_4)
	v_mul_f32_e32 v12, v7, v5
	v_bfe_u32 v5, v8, 16, 1
	v_cmp_o_f32_e32 vcc_lo, v10, v10
	v_bfe_u32 v14, v4, 16, 1
	v_add3_u32 v11, v10, v11, 0x7fff
	v_mul_f32_e32 v6, v7, v6
	v_bfe_u32 v7, v9, 16, 1
	v_add3_u32 v5, v8, v5, 0x7fff
	v_bfe_u32 v13, v12, 16, 1
	v_and_b32_e32 v11, 0xffff0000, v11
	v_bfe_u32 v15, v6, 16, 1
	v_add3_u32 v7, v9, v7, 0x7fff
	v_and_b32_e32 v5, 0xffff0000, v5
	v_add3_u32 v13, v12, v13, 0x7fff
	v_cndmask_b32_e32 v10, 0x7fc00000, v11, vcc_lo
	v_cmp_o_f32_e32 vcc_lo, v8, v8
	v_and_b32_e32 v7, 0xffff0000, v7
	v_add3_u32 v14, v4, v14, 0x7fff
	v_and_b32_e32 v13, 0xffff0000, v13
	v_add3_u32 v15, v6, v15, 0x7fff
	v_cndmask_b32_e32 v8, 0x7fc00000, v5, vcc_lo
	v_cmp_o_f32_e32 vcc_lo, v9, v9
	v_and_b32_e32 v11, 0xffff0000, v14
	s_delay_alu instid0(VALU_DEP_4) | instskip(SKIP_4) | instid1(VALU_DEP_2)
	v_and_b32_e32 v5, 0xffff0000, v15
	v_cndmask_b32_e32 v7, 0x7fc00000, v7, vcc_lo
	v_cmp_o_f32_e32 vcc_lo, v12, v12
	v_cndmask_b32_e32 v9, 0x7fc00000, v13, vcc_lo
	v_cmp_o_f32_e32 vcc_lo, v4, v4
	v_dual_sub_f32 v10, v10, v9 :: v_dual_cndmask_b32 v11, 0x7fc00000, v11
	v_cmp_o_f32_e32 vcc_lo, v6, v6
	v_cndmask_b32_e32 v6, 0x7fc00000, v5, vcc_lo
	v_lshlrev_b64 v[4:5], 1, v[0:1]
	s_delay_alu instid0(VALU_DEP_4) | instskip(SKIP_1) | instid1(VALU_DEP_4)
	v_sub_f32_e32 v0, v11, v8
	v_cmp_le_i64_e32 vcc_lo, s[2:3], v[2:3]
	v_sub_f32_e32 v11, v6, v7
	v_bfe_u32 v6, v10, 16, 1
	v_add_co_u32 v4, s0, s12, v4
	s_delay_alu instid0(VALU_DEP_1) | instskip(SKIP_1) | instid1(VALU_DEP_4)
	v_add_co_ci_u32_e64 v5, s0, s13, v5, s0
	v_bfe_u32 v8, v0, 16, 1
	v_add3_u32 v12, v10, v6, 0x7fff
	s_delay_alu instid0(VALU_DEP_4) | instskip(SKIP_3) | instid1(VALU_DEP_4)
	v_add_co_u32 v6, s0, v4, s20
	v_bfe_u32 v9, v11, 16, 1
	v_add_co_ci_u32_e64 v7, s0, s21, v5, s0
	v_add3_u32 v13, v0, v8, 0x7fff
	v_add_co_u32 v8, s0, v6, s20
	s_delay_alu instid0(VALU_DEP_4) | instskip(NEXT) | instid1(VALU_DEP_4)
	v_add3_u32 v14, v11, v9, 0x7fff
	v_add_co_ci_u32_e64 v9, s0, s21, v7, s0
	v_lshrrev_b32_e32 v12, 16, v12
	v_cmp_o_f32_e64 s0, v10, v10
	v_lshrrev_b32_e32 v13, 16, v13
	v_lshrrev_b32_e32 v14, 16, v14
	s_or_b32 s11, vcc_lo, s11
	s_delay_alu instid0(VALU_DEP_3) | instskip(SKIP_1) | instid1(VALU_DEP_1)
	v_cndmask_b32_e64 v10, 0x7fc0, v12, s0
	v_cmp_o_f32_e64 s0, v0, v0
	v_cndmask_b32_e64 v0, 0x7fc0, v13, s0
	v_cmp_o_f32_e64 s0, v11, v11
	s_delay_alu instid0(VALU_DEP_1)
	v_cndmask_b32_e64 v11, 0x7fc0, v14, s0
	s_clause 0x2
	global_store_b16 v[4:5], v10, off
	global_store_b16 v[6:7], v0, off
	;; [unrolled: 1-line block ×3, first 2 shown]
	s_and_not1_b32 exec_lo, exec_lo, s11
	s_cbranch_execz .LBB21_13
.LBB21_3:                               ; =>This Loop Header: Depth=1
                                        ;     Child Loop BB21_6 Depth 2
	s_and_not1_b32 vcc_lo, exec_lo, s34
	s_cbranch_vccnz .LBB21_9
; %bb.4:                                ;   in Loop: Header=BB21_3 Depth=1
	v_mov_b32_e32 v0, 0
	v_mov_b32_e32 v6, 0
	;; [unrolled: 1-line block ×3, first 2 shown]
	s_and_not1_b32 vcc_lo, exec_lo, s35
	s_mov_b32 s40, 0
	s_cbranch_vccnz .LBB21_10
; %bb.5:                                ;   in Loop: Header=BB21_3 Depth=1
	v_dual_mov_b32 v4, 0 :: v_dual_mov_b32 v5, v2
	v_mov_b32_e32 v6, 0
	s_mov_b32 s41, s36
	s_mov_b64 s[0:1], s[22:23]
	s_delay_alu instid0(VALU_DEP_2)
	v_mov_b32_e32 v0, v4
	s_set_inst_prefetch_distance 0x1
	.p2align	6
.LBB21_6:                               ;   Parent Loop BB21_3 Depth=1
                                        ; =>  This Inner Loop Header: Depth=2
	s_clause 0x2
	s_load_b128 s[44:47], s[0:1], 0x18
	s_load_b64 s[42:43], s[0:1], 0x28
	s_load_b128 s[48:51], s[0:1], 0xd8
	s_waitcnt lgkmcnt(0)
	v_mul_hi_u32 v7, s45, v5
	s_delay_alu instid0(VALU_DEP_1) | instskip(NEXT) | instid1(VALU_DEP_1)
	v_add_nc_u32_e32 v7, v5, v7
	v_lshrrev_b32_e32 v7, s46, v7
	s_delay_alu instid0(VALU_DEP_1)
	v_mul_hi_u32 v8, s42, v7
	v_mul_lo_u32 v9, v7, s44
	s_load_b64 s[44:45], s[0:1], 0xe8
	s_add_u32 s0, s0, 24
	s_addc_u32 s1, s1, 0
	s_add_i32 s41, s41, -2
	s_delay_alu instid0(SALU_CYCLE_1) | instskip(NEXT) | instid1(VALU_DEP_2)
	s_cmp_lg_u32 s41, 0
	v_add_nc_u32_e32 v8, v7, v8
	s_delay_alu instid0(VALU_DEP_2) | instskip(NEXT) | instid1(VALU_DEP_2)
	v_sub_nc_u32_e32 v9, v5, v9
	v_lshrrev_b32_e32 v5, s43, v8
	s_delay_alu instid0(VALU_DEP_2) | instskip(NEXT) | instid1(VALU_DEP_2)
	v_mul_lo_u32 v10, v9, s48
	v_mul_lo_u32 v8, v5, s47
	s_delay_alu instid0(VALU_DEP_1) | instskip(SKIP_2) | instid1(VALU_DEP_3)
	v_sub_nc_u32_e32 v7, v7, v8
	v_mul_lo_u32 v8, v9, s49
	v_mul_lo_u32 v9, v9, s50
	;; [unrolled: 1-line block ×3, first 2 shown]
	s_waitcnt lgkmcnt(0)
	v_mul_lo_u32 v12, v7, s44
	v_mul_lo_u32 v7, v7, s45
	s_delay_alu instid0(VALU_DEP_3) | instskip(NEXT) | instid1(VALU_DEP_3)
	v_add3_u32 v0, v10, v0, v11
	v_add3_u32 v6, v8, v6, v12
	s_delay_alu instid0(VALU_DEP_3)
	v_add3_u32 v4, v9, v4, v7
	s_cbranch_scc1 .LBB21_6
; %bb.7:                                ;   in Loop: Header=BB21_3 Depth=1
	s_set_inst_prefetch_distance 0x2
	s_and_not1_b32 vcc_lo, exec_lo, s37
	s_cbranch_vccnz .LBB21_10
; %bb.8:                                ;   in Loop: Header=BB21_3 Depth=1
	s_clause 0x3
	s_load_b64 s[42:43], s[0:1], 0x18
	s_load_b32 s41, s[0:1], 0x20
	s_load_b64 s[44:45], s[0:1], 0xd8
	s_load_b32 s0, s[0:1], 0xe0
	s_waitcnt lgkmcnt(0)
	v_mul_hi_u32 v7, s43, v5
	s_delay_alu instid0(VALU_DEP_1) | instskip(NEXT) | instid1(VALU_DEP_1)
	v_add_nc_u32_e32 v7, v5, v7
	v_lshrrev_b32_e32 v7, s41, v7
	s_delay_alu instid0(VALU_DEP_1) | instskip(NEXT) | instid1(VALU_DEP_1)
	v_mul_lo_u32 v7, v7, s42
	v_sub_nc_u32_e32 v10, v5, v7
	s_delay_alu instid0(VALU_DEP_1) | instskip(NEXT) | instid1(VALU_DEP_1)
	v_mad_u64_u32 v[7:8], null, v10, s44, v[0:1]
	v_mad_u64_u32 v[8:9], null, v10, s45, v[6:7]
	;; [unrolled: 1-line block ×3, first 2 shown]
	v_mov_b32_e32 v0, v7
	s_delay_alu instid0(VALU_DEP_3) | instskip(NEXT) | instid1(VALU_DEP_3)
	v_mov_b32_e32 v6, v8
	v_mov_b32_e32 v4, v5
	s_branch .LBB21_10
.LBB21_9:                               ;   in Loop: Header=BB21_3 Depth=1
	s_mov_b32 s40, -1
                                        ; implicit-def: $vgpr6
                                        ; implicit-def: $vgpr4
.LBB21_10:                              ;   in Loop: Header=BB21_3 Depth=1
	s_delay_alu instid0(SALU_CYCLE_1)
	s_and_not1_b32 vcc_lo, exec_lo, s40
	s_cbranch_vccnz .LBB21_2
; %bb.11:                               ;   in Loop: Header=BB21_3 Depth=1
	v_mul_hi_u32 v0, v2, s6
	s_and_not1_b32 vcc_lo, exec_lo, s4
	s_delay_alu instid0(VALU_DEP_1) | instskip(NEXT) | instid1(VALU_DEP_1)
	v_add_nc_u32_e32 v0, v0, v2
	v_lshrrev_b32_e32 v5, s7, v0
	s_delay_alu instid0(VALU_DEP_1) | instskip(NEXT) | instid1(VALU_DEP_1)
	v_mul_lo_u32 v0, v5, s5
	v_sub_nc_u32_e32 v4, v2, v0
	s_delay_alu instid0(VALU_DEP_1)
	v_mul_lo_u32 v0, v4, s16
	v_mul_lo_u32 v6, v4, s17
	;; [unrolled: 1-line block ×3, first 2 shown]
	s_cbranch_vccnz .LBB21_2
; %bb.12:                               ;   in Loop: Header=BB21_3 Depth=1
	v_mul_hi_u32 v7, s9, v5
	s_delay_alu instid0(VALU_DEP_1) | instskip(NEXT) | instid1(VALU_DEP_1)
	v_add_nc_u32_e32 v7, v5, v7
	v_lshrrev_b32_e32 v7, s10, v7
	s_delay_alu instid0(VALU_DEP_1) | instskip(NEXT) | instid1(VALU_DEP_1)
	v_mul_lo_u32 v7, v7, s8
	v_sub_nc_u32_e32 v10, v5, v7
	s_delay_alu instid0(VALU_DEP_1) | instskip(NEXT) | instid1(VALU_DEP_1)
	v_mad_u64_u32 v[7:8], null, v10, s19, v[0:1]
	v_mad_u64_u32 v[8:9], null, v10, s26, v[6:7]
	;; [unrolled: 1-line block ×3, first 2 shown]
	v_mov_b32_e32 v0, v7
	s_delay_alu instid0(VALU_DEP_3) | instskip(NEXT) | instid1(VALU_DEP_3)
	v_mov_b32_e32 v6, v8
	v_mov_b32_e32 v4, v5
	s_branch .LBB21_2
.LBB21_13:
	s_nop 0
	s_sendmsg sendmsg(MSG_DEALLOC_VGPRS)
	s_endpgm
	.section	.rodata,"a",@progbits
	.p2align	6, 0x0
	.amdhsa_kernel _ZN2at6native12cross_kernelIN3c108BFloat16E16OffsetCalculatorILi3EjLb0EEiEEviPT_PKS6_S9_T0_T1_SB_SB_
		.amdhsa_group_segment_fixed_size 0
		.amdhsa_private_segment_fixed_size 0
		.amdhsa_kernarg_size 688
		.amdhsa_user_sgpr_count 15
		.amdhsa_user_sgpr_dispatch_ptr 0
		.amdhsa_user_sgpr_queue_ptr 0
		.amdhsa_user_sgpr_kernarg_segment_ptr 1
		.amdhsa_user_sgpr_dispatch_id 0
		.amdhsa_user_sgpr_private_segment_size 0
		.amdhsa_wavefront_size32 1
		.amdhsa_uses_dynamic_stack 0
		.amdhsa_enable_private_segment 0
		.amdhsa_system_sgpr_workgroup_id_x 1
		.amdhsa_system_sgpr_workgroup_id_y 0
		.amdhsa_system_sgpr_workgroup_id_z 0
		.amdhsa_system_sgpr_workgroup_info 0
		.amdhsa_system_vgpr_workitem_id 0
		.amdhsa_next_free_vgpr 16
		.amdhsa_next_free_sgpr 52
		.amdhsa_reserve_vcc 1
		.amdhsa_float_round_mode_32 0
		.amdhsa_float_round_mode_16_64 0
		.amdhsa_float_denorm_mode_32 3
		.amdhsa_float_denorm_mode_16_64 3
		.amdhsa_dx10_clamp 1
		.amdhsa_ieee_mode 1
		.amdhsa_fp16_overflow 0
		.amdhsa_workgroup_processor_mode 1
		.amdhsa_memory_ordered 1
		.amdhsa_forward_progress 0
		.amdhsa_shared_vgpr_count 0
		.amdhsa_exception_fp_ieee_invalid_op 0
		.amdhsa_exception_fp_denorm_src 0
		.amdhsa_exception_fp_ieee_div_zero 0
		.amdhsa_exception_fp_ieee_overflow 0
		.amdhsa_exception_fp_ieee_underflow 0
		.amdhsa_exception_fp_ieee_inexact 0
		.amdhsa_exception_int_div_zero 0
	.end_amdhsa_kernel
	.section	.text._ZN2at6native12cross_kernelIN3c108BFloat16E16OffsetCalculatorILi3EjLb0EEiEEviPT_PKS6_S9_T0_T1_SB_SB_,"axG",@progbits,_ZN2at6native12cross_kernelIN3c108BFloat16E16OffsetCalculatorILi3EjLb0EEiEEviPT_PKS6_S9_T0_T1_SB_SB_,comdat
.Lfunc_end21:
	.size	_ZN2at6native12cross_kernelIN3c108BFloat16E16OffsetCalculatorILi3EjLb0EEiEEviPT_PKS6_S9_T0_T1_SB_SB_, .Lfunc_end21-_ZN2at6native12cross_kernelIN3c108BFloat16E16OffsetCalculatorILi3EjLb0EEiEEviPT_PKS6_S9_T0_T1_SB_SB_
                                        ; -- End function
	.section	.AMDGPU.csdata,"",@progbits
; Kernel info:
; codeLenInByte = 1644
; NumSgprs: 54
; NumVgprs: 16
; ScratchSize: 0
; MemoryBound: 0
; FloatMode: 240
; IeeeMode: 1
; LDSByteSize: 0 bytes/workgroup (compile time only)
; SGPRBlocks: 6
; VGPRBlocks: 1
; NumSGPRsForWavesPerEU: 54
; NumVGPRsForWavesPerEU: 16
; Occupancy: 16
; WaveLimiterHint : 1
; COMPUTE_PGM_RSRC2:SCRATCH_EN: 0
; COMPUTE_PGM_RSRC2:USER_SGPR: 15
; COMPUTE_PGM_RSRC2:TRAP_HANDLER: 0
; COMPUTE_PGM_RSRC2:TGID_X_EN: 1
; COMPUTE_PGM_RSRC2:TGID_Y_EN: 0
; COMPUTE_PGM_RSRC2:TGID_Z_EN: 0
; COMPUTE_PGM_RSRC2:TIDIG_COMP_CNT: 0
	.text
	.p2alignl 7, 3214868480
	.fill 96, 4, 3214868480
	.type	__hip_cuid_3640ed71476f8313,@object ; @__hip_cuid_3640ed71476f8313
	.section	.bss,"aw",@nobits
	.globl	__hip_cuid_3640ed71476f8313
__hip_cuid_3640ed71476f8313:
	.byte	0                               ; 0x0
	.size	__hip_cuid_3640ed71476f8313, 1

	.ident	"AMD clang version 19.0.0git (https://github.com/RadeonOpenCompute/llvm-project roc-6.4.0 25133 c7fe45cf4b819c5991fe208aaa96edf142730f1d)"
	.section	".note.GNU-stack","",@progbits
	.addrsig
	.addrsig_sym __hip_cuid_3640ed71476f8313
	.amdgpu_metadata
---
amdhsa.kernels:
  - .args:
      - .offset:         0
        .size:           4
        .value_kind:     by_value
      - .address_space:  global
        .offset:         8
        .size:           8
        .value_kind:     global_buffer
      - .address_space:  global
        .offset:         16
        .size:           8
        .value_kind:     global_buffer
      - .address_space:  global
        .offset:         24
        .size:           8
        .value_kind:     global_buffer
      - .offset:         32
        .size:           388
        .value_kind:     by_value
      - .offset:         424
        .size:           8
        .value_kind:     by_value
      - .offset:         432
        .size:           8
        .value_kind:     by_value
      - .offset:         440
        .size:           8
        .value_kind:     by_value
      - .offset:         448
        .size:           4
        .value_kind:     hidden_block_count_x
      - .offset:         452
        .size:           4
        .value_kind:     hidden_block_count_y
      - .offset:         456
        .size:           4
        .value_kind:     hidden_block_count_z
      - .offset:         460
        .size:           2
        .value_kind:     hidden_group_size_x
      - .offset:         462
        .size:           2
        .value_kind:     hidden_group_size_y
      - .offset:         464
        .size:           2
        .value_kind:     hidden_group_size_z
      - .offset:         466
        .size:           2
        .value_kind:     hidden_remainder_x
      - .offset:         468
        .size:           2
        .value_kind:     hidden_remainder_y
      - .offset:         470
        .size:           2
        .value_kind:     hidden_remainder_z
      - .offset:         488
        .size:           8
        .value_kind:     hidden_global_offset_x
      - .offset:         496
        .size:           8
        .value_kind:     hidden_global_offset_y
      - .offset:         504
        .size:           8
        .value_kind:     hidden_global_offset_z
      - .offset:         512
        .size:           2
        .value_kind:     hidden_grid_dims
    .group_segment_fixed_size: 0
    .kernarg_segment_align: 8
    .kernarg_segment_size: 704
    .language:       OpenCL C
    .language_version:
      - 2
      - 0
    .max_flat_workgroup_size: 1024
    .name:           _ZN2at6native12cross_kernelIh16OffsetCalculatorILi3EjLb0EElEEviPT_PKS4_S7_T0_T1_S9_S9_
    .private_segment_fixed_size: 0
    .sgpr_count:     54
    .sgpr_spill_count: 0
    .symbol:         _ZN2at6native12cross_kernelIh16OffsetCalculatorILi3EjLb0EElEEviPT_PKS4_S7_T0_T1_S9_S9_.kd
    .uniform_work_group_size: 1
    .uses_dynamic_stack: false
    .vgpr_count:     13
    .vgpr_spill_count: 0
    .wavefront_size: 32
    .workgroup_processor_mode: 1
  - .args:
      - .offset:         0
        .size:           4
        .value_kind:     by_value
      - .address_space:  global
        .offset:         8
        .size:           8
        .value_kind:     global_buffer
      - .address_space:  global
        .offset:         16
        .size:           8
        .value_kind:     global_buffer
      - .address_space:  global
        .offset:         24
        .size:           8
        .value_kind:     global_buffer
      - .offset:         32
        .size:           388
        .value_kind:     by_value
      - .offset:         420
        .size:           4
        .value_kind:     by_value
      - .offset:         424
        .size:           4
        .value_kind:     by_value
      - .offset:         428
        .size:           4
        .value_kind:     by_value
      - .offset:         432
        .size:           4
        .value_kind:     hidden_block_count_x
      - .offset:         436
        .size:           4
        .value_kind:     hidden_block_count_y
      - .offset:         440
        .size:           4
        .value_kind:     hidden_block_count_z
      - .offset:         444
        .size:           2
        .value_kind:     hidden_group_size_x
      - .offset:         446
        .size:           2
        .value_kind:     hidden_group_size_y
      - .offset:         448
        .size:           2
        .value_kind:     hidden_group_size_z
      - .offset:         450
        .size:           2
        .value_kind:     hidden_remainder_x
      - .offset:         452
        .size:           2
        .value_kind:     hidden_remainder_y
      - .offset:         454
        .size:           2
        .value_kind:     hidden_remainder_z
      - .offset:         472
        .size:           8
        .value_kind:     hidden_global_offset_x
      - .offset:         480
        .size:           8
        .value_kind:     hidden_global_offset_y
      - .offset:         488
        .size:           8
        .value_kind:     hidden_global_offset_z
      - .offset:         496
        .size:           2
        .value_kind:     hidden_grid_dims
    .group_segment_fixed_size: 0
    .kernarg_segment_align: 8
    .kernarg_segment_size: 688
    .language:       OpenCL C
    .language_version:
      - 2
      - 0
    .max_flat_workgroup_size: 1024
    .name:           _ZN2at6native12cross_kernelIh16OffsetCalculatorILi3EjLb0EEiEEviPT_PKS4_S7_T0_T1_S9_S9_
    .private_segment_fixed_size: 0
    .sgpr_count:     56
    .sgpr_spill_count: 0
    .symbol:         _ZN2at6native12cross_kernelIh16OffsetCalculatorILi3EjLb0EEiEEviPT_PKS4_S7_T0_T1_S9_S9_.kd
    .uniform_work_group_size: 1
    .uses_dynamic_stack: false
    .vgpr_count:     13
    .vgpr_spill_count: 0
    .wavefront_size: 32
    .workgroup_processor_mode: 1
  - .args:
      - .offset:         0
        .size:           4
        .value_kind:     by_value
      - .address_space:  global
        .offset:         8
        .size:           8
        .value_kind:     global_buffer
      - .address_space:  global
        .offset:         16
        .size:           8
        .value_kind:     global_buffer
      - .address_space:  global
        .offset:         24
        .size:           8
        .value_kind:     global_buffer
      - .offset:         32
        .size:           388
        .value_kind:     by_value
      - .offset:         424
        .size:           8
        .value_kind:     by_value
      - .offset:         432
        .size:           8
        .value_kind:     by_value
      - .offset:         440
        .size:           8
        .value_kind:     by_value
      - .offset:         448
        .size:           4
        .value_kind:     hidden_block_count_x
      - .offset:         452
        .size:           4
        .value_kind:     hidden_block_count_y
      - .offset:         456
        .size:           4
        .value_kind:     hidden_block_count_z
      - .offset:         460
        .size:           2
        .value_kind:     hidden_group_size_x
      - .offset:         462
        .size:           2
        .value_kind:     hidden_group_size_y
      - .offset:         464
        .size:           2
        .value_kind:     hidden_group_size_z
      - .offset:         466
        .size:           2
        .value_kind:     hidden_remainder_x
      - .offset:         468
        .size:           2
        .value_kind:     hidden_remainder_y
      - .offset:         470
        .size:           2
        .value_kind:     hidden_remainder_z
      - .offset:         488
        .size:           8
        .value_kind:     hidden_global_offset_x
      - .offset:         496
        .size:           8
        .value_kind:     hidden_global_offset_y
      - .offset:         504
        .size:           8
        .value_kind:     hidden_global_offset_z
      - .offset:         512
        .size:           2
        .value_kind:     hidden_grid_dims
    .group_segment_fixed_size: 0
    .kernarg_segment_align: 8
    .kernarg_segment_size: 704
    .language:       OpenCL C
    .language_version:
      - 2
      - 0
    .max_flat_workgroup_size: 1024
    .name:           _ZN2at6native12cross_kernelIa16OffsetCalculatorILi3EjLb0EElEEviPT_PKS4_S7_T0_T1_S9_S9_
    .private_segment_fixed_size: 0
    .sgpr_count:     54
    .sgpr_spill_count: 0
    .symbol:         _ZN2at6native12cross_kernelIa16OffsetCalculatorILi3EjLb0EElEEviPT_PKS4_S7_T0_T1_S9_S9_.kd
    .uniform_work_group_size: 1
    .uses_dynamic_stack: false
    .vgpr_count:     13
    .vgpr_spill_count: 0
    .wavefront_size: 32
    .workgroup_processor_mode: 1
  - .args:
      - .offset:         0
        .size:           4
        .value_kind:     by_value
      - .address_space:  global
        .offset:         8
        .size:           8
        .value_kind:     global_buffer
      - .address_space:  global
        .offset:         16
        .size:           8
        .value_kind:     global_buffer
      - .address_space:  global
        .offset:         24
        .size:           8
        .value_kind:     global_buffer
      - .offset:         32
        .size:           388
        .value_kind:     by_value
      - .offset:         420
        .size:           4
        .value_kind:     by_value
      - .offset:         424
        .size:           4
        .value_kind:     by_value
      - .offset:         428
        .size:           4
        .value_kind:     by_value
      - .offset:         432
        .size:           4
        .value_kind:     hidden_block_count_x
      - .offset:         436
        .size:           4
        .value_kind:     hidden_block_count_y
      - .offset:         440
        .size:           4
        .value_kind:     hidden_block_count_z
      - .offset:         444
        .size:           2
        .value_kind:     hidden_group_size_x
      - .offset:         446
        .size:           2
        .value_kind:     hidden_group_size_y
      - .offset:         448
        .size:           2
        .value_kind:     hidden_group_size_z
      - .offset:         450
        .size:           2
        .value_kind:     hidden_remainder_x
      - .offset:         452
        .size:           2
        .value_kind:     hidden_remainder_y
      - .offset:         454
        .size:           2
        .value_kind:     hidden_remainder_z
      - .offset:         472
        .size:           8
        .value_kind:     hidden_global_offset_x
      - .offset:         480
        .size:           8
        .value_kind:     hidden_global_offset_y
      - .offset:         488
        .size:           8
        .value_kind:     hidden_global_offset_z
      - .offset:         496
        .size:           2
        .value_kind:     hidden_grid_dims
    .group_segment_fixed_size: 0
    .kernarg_segment_align: 8
    .kernarg_segment_size: 688
    .language:       OpenCL C
    .language_version:
      - 2
      - 0
    .max_flat_workgroup_size: 1024
    .name:           _ZN2at6native12cross_kernelIa16OffsetCalculatorILi3EjLb0EEiEEviPT_PKS4_S7_T0_T1_S9_S9_
    .private_segment_fixed_size: 0
    .sgpr_count:     56
    .sgpr_spill_count: 0
    .symbol:         _ZN2at6native12cross_kernelIa16OffsetCalculatorILi3EjLb0EEiEEviPT_PKS4_S7_T0_T1_S9_S9_.kd
    .uniform_work_group_size: 1
    .uses_dynamic_stack: false
    .vgpr_count:     13
    .vgpr_spill_count: 0
    .wavefront_size: 32
    .workgroup_processor_mode: 1
  - .args:
      - .offset:         0
        .size:           4
        .value_kind:     by_value
      - .address_space:  global
        .offset:         8
        .size:           8
        .value_kind:     global_buffer
      - .address_space:  global
        .offset:         16
        .size:           8
        .value_kind:     global_buffer
      - .address_space:  global
        .offset:         24
        .size:           8
        .value_kind:     global_buffer
      - .offset:         32
        .size:           388
        .value_kind:     by_value
      - .offset:         424
        .size:           8
        .value_kind:     by_value
      - .offset:         432
        .size:           8
        .value_kind:     by_value
      - .offset:         440
        .size:           8
        .value_kind:     by_value
      - .offset:         448
        .size:           4
        .value_kind:     hidden_block_count_x
      - .offset:         452
        .size:           4
        .value_kind:     hidden_block_count_y
      - .offset:         456
        .size:           4
        .value_kind:     hidden_block_count_z
      - .offset:         460
        .size:           2
        .value_kind:     hidden_group_size_x
      - .offset:         462
        .size:           2
        .value_kind:     hidden_group_size_y
      - .offset:         464
        .size:           2
        .value_kind:     hidden_group_size_z
      - .offset:         466
        .size:           2
        .value_kind:     hidden_remainder_x
      - .offset:         468
        .size:           2
        .value_kind:     hidden_remainder_y
      - .offset:         470
        .size:           2
        .value_kind:     hidden_remainder_z
      - .offset:         488
        .size:           8
        .value_kind:     hidden_global_offset_x
      - .offset:         496
        .size:           8
        .value_kind:     hidden_global_offset_y
      - .offset:         504
        .size:           8
        .value_kind:     hidden_global_offset_z
      - .offset:         512
        .size:           2
        .value_kind:     hidden_grid_dims
    .group_segment_fixed_size: 0
    .kernarg_segment_align: 8
    .kernarg_segment_size: 704
    .language:       OpenCL C
    .language_version:
      - 2
      - 0
    .max_flat_workgroup_size: 1024
    .name:           _ZN2at6native12cross_kernelIi16OffsetCalculatorILi3EjLb0EElEEviPT_PKS4_S7_T0_T1_S9_S9_
    .private_segment_fixed_size: 0
    .sgpr_count:     54
    .sgpr_spill_count: 0
    .symbol:         _ZN2at6native12cross_kernelIi16OffsetCalculatorILi3EjLb0EElEEviPT_PKS4_S7_T0_T1_S9_S9_.kd
    .uniform_work_group_size: 1
    .uses_dynamic_stack: false
    .vgpr_count:     15
    .vgpr_spill_count: 0
    .wavefront_size: 32
    .workgroup_processor_mode: 1
  - .args:
      - .offset:         0
        .size:           4
        .value_kind:     by_value
      - .address_space:  global
        .offset:         8
        .size:           8
        .value_kind:     global_buffer
      - .address_space:  global
        .offset:         16
        .size:           8
        .value_kind:     global_buffer
      - .address_space:  global
        .offset:         24
        .size:           8
        .value_kind:     global_buffer
      - .offset:         32
        .size:           388
        .value_kind:     by_value
      - .offset:         420
        .size:           4
        .value_kind:     by_value
      - .offset:         424
        .size:           4
        .value_kind:     by_value
      - .offset:         428
        .size:           4
        .value_kind:     by_value
      - .offset:         432
        .size:           4
        .value_kind:     hidden_block_count_x
      - .offset:         436
        .size:           4
        .value_kind:     hidden_block_count_y
      - .offset:         440
        .size:           4
        .value_kind:     hidden_block_count_z
      - .offset:         444
        .size:           2
        .value_kind:     hidden_group_size_x
      - .offset:         446
        .size:           2
        .value_kind:     hidden_group_size_y
      - .offset:         448
        .size:           2
        .value_kind:     hidden_group_size_z
      - .offset:         450
        .size:           2
        .value_kind:     hidden_remainder_x
      - .offset:         452
        .size:           2
        .value_kind:     hidden_remainder_y
      - .offset:         454
        .size:           2
        .value_kind:     hidden_remainder_z
      - .offset:         472
        .size:           8
        .value_kind:     hidden_global_offset_x
      - .offset:         480
        .size:           8
        .value_kind:     hidden_global_offset_y
      - .offset:         488
        .size:           8
        .value_kind:     hidden_global_offset_z
      - .offset:         496
        .size:           2
        .value_kind:     hidden_grid_dims
    .group_segment_fixed_size: 0
    .kernarg_segment_align: 8
    .kernarg_segment_size: 688
    .language:       OpenCL C
    .language_version:
      - 2
      - 0
    .max_flat_workgroup_size: 1024
    .name:           _ZN2at6native12cross_kernelIi16OffsetCalculatorILi3EjLb0EEiEEviPT_PKS4_S7_T0_T1_S9_S9_
    .private_segment_fixed_size: 0
    .sgpr_count:     54
    .sgpr_spill_count: 0
    .symbol:         _ZN2at6native12cross_kernelIi16OffsetCalculatorILi3EjLb0EEiEEviPT_PKS4_S7_T0_T1_S9_S9_.kd
    .uniform_work_group_size: 1
    .uses_dynamic_stack: false
    .vgpr_count:     15
    .vgpr_spill_count: 0
    .wavefront_size: 32
    .workgroup_processor_mode: 1
  - .args:
      - .offset:         0
        .size:           4
        .value_kind:     by_value
      - .address_space:  global
        .offset:         8
        .size:           8
        .value_kind:     global_buffer
      - .address_space:  global
        .offset:         16
        .size:           8
        .value_kind:     global_buffer
      - .address_space:  global
        .offset:         24
        .size:           8
        .value_kind:     global_buffer
      - .offset:         32
        .size:           388
        .value_kind:     by_value
      - .offset:         424
        .size:           8
        .value_kind:     by_value
      - .offset:         432
        .size:           8
        .value_kind:     by_value
      - .offset:         440
        .size:           8
        .value_kind:     by_value
      - .offset:         448
        .size:           4
        .value_kind:     hidden_block_count_x
      - .offset:         452
        .size:           4
        .value_kind:     hidden_block_count_y
      - .offset:         456
        .size:           4
        .value_kind:     hidden_block_count_z
      - .offset:         460
        .size:           2
        .value_kind:     hidden_group_size_x
      - .offset:         462
        .size:           2
        .value_kind:     hidden_group_size_y
      - .offset:         464
        .size:           2
        .value_kind:     hidden_group_size_z
      - .offset:         466
        .size:           2
        .value_kind:     hidden_remainder_x
      - .offset:         468
        .size:           2
        .value_kind:     hidden_remainder_y
      - .offset:         470
        .size:           2
        .value_kind:     hidden_remainder_z
      - .offset:         488
        .size:           8
        .value_kind:     hidden_global_offset_x
      - .offset:         496
        .size:           8
        .value_kind:     hidden_global_offset_y
      - .offset:         504
        .size:           8
        .value_kind:     hidden_global_offset_z
      - .offset:         512
        .size:           2
        .value_kind:     hidden_grid_dims
    .group_segment_fixed_size: 0
    .kernarg_segment_align: 8
    .kernarg_segment_size: 704
    .language:       OpenCL C
    .language_version:
      - 2
      - 0
    .max_flat_workgroup_size: 1024
    .name:           _ZN2at6native12cross_kernelIl16OffsetCalculatorILi3EjLb0EElEEviPT_PKS4_S7_T0_T1_S9_S9_
    .private_segment_fixed_size: 0
    .sgpr_count:     54
    .sgpr_spill_count: 0
    .symbol:         _ZN2at6native12cross_kernelIl16OffsetCalculatorILi3EjLb0EElEEviPT_PKS4_S7_T0_T1_S9_S9_.kd
    .uniform_work_group_size: 1
    .uses_dynamic_stack: false
    .vgpr_count:     34
    .vgpr_spill_count: 0
    .wavefront_size: 32
    .workgroup_processor_mode: 1
  - .args:
      - .offset:         0
        .size:           4
        .value_kind:     by_value
      - .address_space:  global
        .offset:         8
        .size:           8
        .value_kind:     global_buffer
      - .address_space:  global
        .offset:         16
        .size:           8
        .value_kind:     global_buffer
      - .address_space:  global
        .offset:         24
        .size:           8
        .value_kind:     global_buffer
      - .offset:         32
        .size:           388
        .value_kind:     by_value
      - .offset:         420
        .size:           4
        .value_kind:     by_value
      - .offset:         424
        .size:           4
        .value_kind:     by_value
      - .offset:         428
        .size:           4
        .value_kind:     by_value
      - .offset:         432
        .size:           4
        .value_kind:     hidden_block_count_x
      - .offset:         436
        .size:           4
        .value_kind:     hidden_block_count_y
      - .offset:         440
        .size:           4
        .value_kind:     hidden_block_count_z
      - .offset:         444
        .size:           2
        .value_kind:     hidden_group_size_x
      - .offset:         446
        .size:           2
        .value_kind:     hidden_group_size_y
      - .offset:         448
        .size:           2
        .value_kind:     hidden_group_size_z
      - .offset:         450
        .size:           2
        .value_kind:     hidden_remainder_x
      - .offset:         452
        .size:           2
        .value_kind:     hidden_remainder_y
      - .offset:         454
        .size:           2
        .value_kind:     hidden_remainder_z
      - .offset:         472
        .size:           8
        .value_kind:     hidden_global_offset_x
      - .offset:         480
        .size:           8
        .value_kind:     hidden_global_offset_y
      - .offset:         488
        .size:           8
        .value_kind:     hidden_global_offset_z
      - .offset:         496
        .size:           2
        .value_kind:     hidden_grid_dims
    .group_segment_fixed_size: 0
    .kernarg_segment_align: 8
    .kernarg_segment_size: 688
    .language:       OpenCL C
    .language_version:
      - 2
      - 0
    .max_flat_workgroup_size: 1024
    .name:           _ZN2at6native12cross_kernelIl16OffsetCalculatorILi3EjLb0EEiEEviPT_PKS4_S7_T0_T1_S9_S9_
    .private_segment_fixed_size: 0
    .sgpr_count:     54
    .sgpr_spill_count: 0
    .symbol:         _ZN2at6native12cross_kernelIl16OffsetCalculatorILi3EjLb0EEiEEviPT_PKS4_S7_T0_T1_S9_S9_.kd
    .uniform_work_group_size: 1
    .uses_dynamic_stack: false
    .vgpr_count:     34
    .vgpr_spill_count: 0
    .wavefront_size: 32
    .workgroup_processor_mode: 1
  - .args:
      - .offset:         0
        .size:           4
        .value_kind:     by_value
      - .address_space:  global
        .offset:         8
        .size:           8
        .value_kind:     global_buffer
      - .address_space:  global
        .offset:         16
        .size:           8
        .value_kind:     global_buffer
      - .address_space:  global
        .offset:         24
        .size:           8
        .value_kind:     global_buffer
      - .offset:         32
        .size:           388
        .value_kind:     by_value
      - .offset:         424
        .size:           8
        .value_kind:     by_value
      - .offset:         432
        .size:           8
        .value_kind:     by_value
      - .offset:         440
        .size:           8
        .value_kind:     by_value
      - .offset:         448
        .size:           4
        .value_kind:     hidden_block_count_x
      - .offset:         452
        .size:           4
        .value_kind:     hidden_block_count_y
      - .offset:         456
        .size:           4
        .value_kind:     hidden_block_count_z
      - .offset:         460
        .size:           2
        .value_kind:     hidden_group_size_x
      - .offset:         462
        .size:           2
        .value_kind:     hidden_group_size_y
      - .offset:         464
        .size:           2
        .value_kind:     hidden_group_size_z
      - .offset:         466
        .size:           2
        .value_kind:     hidden_remainder_x
      - .offset:         468
        .size:           2
        .value_kind:     hidden_remainder_y
      - .offset:         470
        .size:           2
        .value_kind:     hidden_remainder_z
      - .offset:         488
        .size:           8
        .value_kind:     hidden_global_offset_x
      - .offset:         496
        .size:           8
        .value_kind:     hidden_global_offset_y
      - .offset:         504
        .size:           8
        .value_kind:     hidden_global_offset_z
      - .offset:         512
        .size:           2
        .value_kind:     hidden_grid_dims
    .group_segment_fixed_size: 0
    .kernarg_segment_align: 8
    .kernarg_segment_size: 704
    .language:       OpenCL C
    .language_version:
      - 2
      - 0
    .max_flat_workgroup_size: 1024
    .name:           _ZN2at6native12cross_kernelIs16OffsetCalculatorILi3EjLb0EElEEviPT_PKS4_S7_T0_T1_S9_S9_
    .private_segment_fixed_size: 0
    .sgpr_count:     54
    .sgpr_spill_count: 0
    .symbol:         _ZN2at6native12cross_kernelIs16OffsetCalculatorILi3EjLb0EElEEviPT_PKS4_S7_T0_T1_S9_S9_.kd
    .uniform_work_group_size: 1
    .uses_dynamic_stack: false
    .vgpr_count:     15
    .vgpr_spill_count: 0
    .wavefront_size: 32
    .workgroup_processor_mode: 1
  - .args:
      - .offset:         0
        .size:           4
        .value_kind:     by_value
      - .address_space:  global
        .offset:         8
        .size:           8
        .value_kind:     global_buffer
      - .address_space:  global
        .offset:         16
        .size:           8
        .value_kind:     global_buffer
      - .address_space:  global
        .offset:         24
        .size:           8
        .value_kind:     global_buffer
      - .offset:         32
        .size:           388
        .value_kind:     by_value
      - .offset:         420
        .size:           4
        .value_kind:     by_value
      - .offset:         424
        .size:           4
        .value_kind:     by_value
      - .offset:         428
        .size:           4
        .value_kind:     by_value
      - .offset:         432
        .size:           4
        .value_kind:     hidden_block_count_x
      - .offset:         436
        .size:           4
        .value_kind:     hidden_block_count_y
      - .offset:         440
        .size:           4
        .value_kind:     hidden_block_count_z
      - .offset:         444
        .size:           2
        .value_kind:     hidden_group_size_x
      - .offset:         446
        .size:           2
        .value_kind:     hidden_group_size_y
      - .offset:         448
        .size:           2
        .value_kind:     hidden_group_size_z
      - .offset:         450
        .size:           2
        .value_kind:     hidden_remainder_x
      - .offset:         452
        .size:           2
        .value_kind:     hidden_remainder_y
      - .offset:         454
        .size:           2
        .value_kind:     hidden_remainder_z
      - .offset:         472
        .size:           8
        .value_kind:     hidden_global_offset_x
      - .offset:         480
        .size:           8
        .value_kind:     hidden_global_offset_y
      - .offset:         488
        .size:           8
        .value_kind:     hidden_global_offset_z
      - .offset:         496
        .size:           2
        .value_kind:     hidden_grid_dims
    .group_segment_fixed_size: 0
    .kernarg_segment_align: 8
    .kernarg_segment_size: 688
    .language:       OpenCL C
    .language_version:
      - 2
      - 0
    .max_flat_workgroup_size: 1024
    .name:           _ZN2at6native12cross_kernelIs16OffsetCalculatorILi3EjLb0EEiEEviPT_PKS4_S7_T0_T1_S9_S9_
    .private_segment_fixed_size: 0
    .sgpr_count:     54
    .sgpr_spill_count: 0
    .symbol:         _ZN2at6native12cross_kernelIs16OffsetCalculatorILi3EjLb0EEiEEviPT_PKS4_S7_T0_T1_S9_S9_.kd
    .uniform_work_group_size: 1
    .uses_dynamic_stack: false
    .vgpr_count:     15
    .vgpr_spill_count: 0
    .wavefront_size: 32
    .workgroup_processor_mode: 1
  - .args:
      - .offset:         0
        .size:           4
        .value_kind:     by_value
      - .address_space:  global
        .offset:         8
        .size:           8
        .value_kind:     global_buffer
      - .address_space:  global
        .offset:         16
        .size:           8
        .value_kind:     global_buffer
      - .address_space:  global
        .offset:         24
        .size:           8
        .value_kind:     global_buffer
      - .offset:         32
        .size:           388
        .value_kind:     by_value
      - .offset:         424
        .size:           8
        .value_kind:     by_value
      - .offset:         432
        .size:           8
        .value_kind:     by_value
      - .offset:         440
        .size:           8
        .value_kind:     by_value
      - .offset:         448
        .size:           4
        .value_kind:     hidden_block_count_x
      - .offset:         452
        .size:           4
        .value_kind:     hidden_block_count_y
      - .offset:         456
        .size:           4
        .value_kind:     hidden_block_count_z
      - .offset:         460
        .size:           2
        .value_kind:     hidden_group_size_x
      - .offset:         462
        .size:           2
        .value_kind:     hidden_group_size_y
      - .offset:         464
        .size:           2
        .value_kind:     hidden_group_size_z
      - .offset:         466
        .size:           2
        .value_kind:     hidden_remainder_x
      - .offset:         468
        .size:           2
        .value_kind:     hidden_remainder_y
      - .offset:         470
        .size:           2
        .value_kind:     hidden_remainder_z
      - .offset:         488
        .size:           8
        .value_kind:     hidden_global_offset_x
      - .offset:         496
        .size:           8
        .value_kind:     hidden_global_offset_y
      - .offset:         504
        .size:           8
        .value_kind:     hidden_global_offset_z
      - .offset:         512
        .size:           2
        .value_kind:     hidden_grid_dims
    .group_segment_fixed_size: 0
    .kernarg_segment_align: 8
    .kernarg_segment_size: 704
    .language:       OpenCL C
    .language_version:
      - 2
      - 0
    .max_flat_workgroup_size: 1024
    .name:           _ZN2at6native12cross_kernelId16OffsetCalculatorILi3EjLb0EElEEviPT_PKS4_S7_T0_T1_S9_S9_
    .private_segment_fixed_size: 0
    .sgpr_count:     54
    .sgpr_spill_count: 0
    .symbol:         _ZN2at6native12cross_kernelId16OffsetCalculatorILi3EjLb0EElEEviPT_PKS4_S7_T0_T1_S9_S9_.kd
    .uniform_work_group_size: 1
    .uses_dynamic_stack: false
    .vgpr_count:     22
    .vgpr_spill_count: 0
    .wavefront_size: 32
    .workgroup_processor_mode: 1
  - .args:
      - .offset:         0
        .size:           4
        .value_kind:     by_value
      - .address_space:  global
        .offset:         8
        .size:           8
        .value_kind:     global_buffer
      - .address_space:  global
        .offset:         16
        .size:           8
        .value_kind:     global_buffer
      - .address_space:  global
        .offset:         24
        .size:           8
        .value_kind:     global_buffer
      - .offset:         32
        .size:           388
        .value_kind:     by_value
      - .offset:         420
        .size:           4
        .value_kind:     by_value
      - .offset:         424
        .size:           4
        .value_kind:     by_value
      - .offset:         428
        .size:           4
        .value_kind:     by_value
      - .offset:         432
        .size:           4
        .value_kind:     hidden_block_count_x
      - .offset:         436
        .size:           4
        .value_kind:     hidden_block_count_y
      - .offset:         440
        .size:           4
        .value_kind:     hidden_block_count_z
      - .offset:         444
        .size:           2
        .value_kind:     hidden_group_size_x
      - .offset:         446
        .size:           2
        .value_kind:     hidden_group_size_y
      - .offset:         448
        .size:           2
        .value_kind:     hidden_group_size_z
      - .offset:         450
        .size:           2
        .value_kind:     hidden_remainder_x
      - .offset:         452
        .size:           2
        .value_kind:     hidden_remainder_y
      - .offset:         454
        .size:           2
        .value_kind:     hidden_remainder_z
      - .offset:         472
        .size:           8
        .value_kind:     hidden_global_offset_x
      - .offset:         480
        .size:           8
        .value_kind:     hidden_global_offset_y
      - .offset:         488
        .size:           8
        .value_kind:     hidden_global_offset_z
      - .offset:         496
        .size:           2
        .value_kind:     hidden_grid_dims
    .group_segment_fixed_size: 0
    .kernarg_segment_align: 8
    .kernarg_segment_size: 688
    .language:       OpenCL C
    .language_version:
      - 2
      - 0
    .max_flat_workgroup_size: 1024
    .name:           _ZN2at6native12cross_kernelId16OffsetCalculatorILi3EjLb0EEiEEviPT_PKS4_S7_T0_T1_S9_S9_
    .private_segment_fixed_size: 0
    .sgpr_count:     54
    .sgpr_spill_count: 0
    .symbol:         _ZN2at6native12cross_kernelId16OffsetCalculatorILi3EjLb0EEiEEviPT_PKS4_S7_T0_T1_S9_S9_.kd
    .uniform_work_group_size: 1
    .uses_dynamic_stack: false
    .vgpr_count:     22
    .vgpr_spill_count: 0
    .wavefront_size: 32
    .workgroup_processor_mode: 1
  - .args:
      - .offset:         0
        .size:           4
        .value_kind:     by_value
      - .address_space:  global
        .offset:         8
        .size:           8
        .value_kind:     global_buffer
      - .address_space:  global
        .offset:         16
        .size:           8
        .value_kind:     global_buffer
      - .address_space:  global
        .offset:         24
        .size:           8
        .value_kind:     global_buffer
      - .offset:         32
        .size:           388
        .value_kind:     by_value
      - .offset:         424
        .size:           8
        .value_kind:     by_value
      - .offset:         432
        .size:           8
        .value_kind:     by_value
      - .offset:         440
        .size:           8
        .value_kind:     by_value
      - .offset:         448
        .size:           4
        .value_kind:     hidden_block_count_x
      - .offset:         452
        .size:           4
        .value_kind:     hidden_block_count_y
      - .offset:         456
        .size:           4
        .value_kind:     hidden_block_count_z
      - .offset:         460
        .size:           2
        .value_kind:     hidden_group_size_x
      - .offset:         462
        .size:           2
        .value_kind:     hidden_group_size_y
      - .offset:         464
        .size:           2
        .value_kind:     hidden_group_size_z
      - .offset:         466
        .size:           2
        .value_kind:     hidden_remainder_x
      - .offset:         468
        .size:           2
        .value_kind:     hidden_remainder_y
      - .offset:         470
        .size:           2
        .value_kind:     hidden_remainder_z
      - .offset:         488
        .size:           8
        .value_kind:     hidden_global_offset_x
      - .offset:         496
        .size:           8
        .value_kind:     hidden_global_offset_y
      - .offset:         504
        .size:           8
        .value_kind:     hidden_global_offset_z
      - .offset:         512
        .size:           2
        .value_kind:     hidden_grid_dims
    .group_segment_fixed_size: 0
    .kernarg_segment_align: 8
    .kernarg_segment_size: 704
    .language:       OpenCL C
    .language_version:
      - 2
      - 0
    .max_flat_workgroup_size: 1024
    .name:           _ZN2at6native12cross_kernelIf16OffsetCalculatorILi3EjLb0EElEEviPT_PKS4_S7_T0_T1_S9_S9_
    .private_segment_fixed_size: 0
    .sgpr_count:     54
    .sgpr_spill_count: 0
    .symbol:         _ZN2at6native12cross_kernelIf16OffsetCalculatorILi3EjLb0EElEEviPT_PKS4_S7_T0_T1_S9_S9_.kd
    .uniform_work_group_size: 1
    .uses_dynamic_stack: false
    .vgpr_count:     18
    .vgpr_spill_count: 0
    .wavefront_size: 32
    .workgroup_processor_mode: 1
  - .args:
      - .offset:         0
        .size:           4
        .value_kind:     by_value
      - .address_space:  global
        .offset:         8
        .size:           8
        .value_kind:     global_buffer
      - .address_space:  global
        .offset:         16
        .size:           8
        .value_kind:     global_buffer
      - .address_space:  global
        .offset:         24
        .size:           8
        .value_kind:     global_buffer
      - .offset:         32
        .size:           388
        .value_kind:     by_value
      - .offset:         420
        .size:           4
        .value_kind:     by_value
      - .offset:         424
        .size:           4
        .value_kind:     by_value
      - .offset:         428
        .size:           4
        .value_kind:     by_value
      - .offset:         432
        .size:           4
        .value_kind:     hidden_block_count_x
      - .offset:         436
        .size:           4
        .value_kind:     hidden_block_count_y
      - .offset:         440
        .size:           4
        .value_kind:     hidden_block_count_z
      - .offset:         444
        .size:           2
        .value_kind:     hidden_group_size_x
      - .offset:         446
        .size:           2
        .value_kind:     hidden_group_size_y
      - .offset:         448
        .size:           2
        .value_kind:     hidden_group_size_z
      - .offset:         450
        .size:           2
        .value_kind:     hidden_remainder_x
      - .offset:         452
        .size:           2
        .value_kind:     hidden_remainder_y
      - .offset:         454
        .size:           2
        .value_kind:     hidden_remainder_z
      - .offset:         472
        .size:           8
        .value_kind:     hidden_global_offset_x
      - .offset:         480
        .size:           8
        .value_kind:     hidden_global_offset_y
      - .offset:         488
        .size:           8
        .value_kind:     hidden_global_offset_z
      - .offset:         496
        .size:           2
        .value_kind:     hidden_grid_dims
    .group_segment_fixed_size: 0
    .kernarg_segment_align: 8
    .kernarg_segment_size: 688
    .language:       OpenCL C
    .language_version:
      - 2
      - 0
    .max_flat_workgroup_size: 1024
    .name:           _ZN2at6native12cross_kernelIf16OffsetCalculatorILi3EjLb0EEiEEviPT_PKS4_S7_T0_T1_S9_S9_
    .private_segment_fixed_size: 0
    .sgpr_count:     54
    .sgpr_spill_count: 0
    .symbol:         _ZN2at6native12cross_kernelIf16OffsetCalculatorILi3EjLb0EEiEEviPT_PKS4_S7_T0_T1_S9_S9_.kd
    .uniform_work_group_size: 1
    .uses_dynamic_stack: false
    .vgpr_count:     18
    .vgpr_spill_count: 0
    .wavefront_size: 32
    .workgroup_processor_mode: 1
  - .args:
      - .offset:         0
        .size:           4
        .value_kind:     by_value
      - .address_space:  global
        .offset:         8
        .size:           8
        .value_kind:     global_buffer
      - .address_space:  global
        .offset:         16
        .size:           8
        .value_kind:     global_buffer
      - .address_space:  global
        .offset:         24
        .size:           8
        .value_kind:     global_buffer
      - .offset:         32
        .size:           388
        .value_kind:     by_value
      - .offset:         424
        .size:           8
        .value_kind:     by_value
      - .offset:         432
        .size:           8
        .value_kind:     by_value
      - .offset:         440
        .size:           8
        .value_kind:     by_value
      - .offset:         448
        .size:           4
        .value_kind:     hidden_block_count_x
      - .offset:         452
        .size:           4
        .value_kind:     hidden_block_count_y
      - .offset:         456
        .size:           4
        .value_kind:     hidden_block_count_z
      - .offset:         460
        .size:           2
        .value_kind:     hidden_group_size_x
      - .offset:         462
        .size:           2
        .value_kind:     hidden_group_size_y
      - .offset:         464
        .size:           2
        .value_kind:     hidden_group_size_z
      - .offset:         466
        .size:           2
        .value_kind:     hidden_remainder_x
      - .offset:         468
        .size:           2
        .value_kind:     hidden_remainder_y
      - .offset:         470
        .size:           2
        .value_kind:     hidden_remainder_z
      - .offset:         488
        .size:           8
        .value_kind:     hidden_global_offset_x
      - .offset:         496
        .size:           8
        .value_kind:     hidden_global_offset_y
      - .offset:         504
        .size:           8
        .value_kind:     hidden_global_offset_z
      - .offset:         512
        .size:           2
        .value_kind:     hidden_grid_dims
    .group_segment_fixed_size: 0
    .kernarg_segment_align: 8
    .kernarg_segment_size: 704
    .language:       OpenCL C
    .language_version:
      - 2
      - 0
    .max_flat_workgroup_size: 1024
    .name:           _ZN2at6native12cross_kernelIN3c107complexIdEE16OffsetCalculatorILi3EjLb0EElEEviPT_PKS7_SA_T0_T1_SC_SC_
    .private_segment_fixed_size: 0
    .sgpr_count:     54
    .sgpr_spill_count: 0
    .symbol:         _ZN2at6native12cross_kernelIN3c107complexIdEE16OffsetCalculatorILi3EjLb0EElEEviPT_PKS7_SA_T0_T1_SC_SC_.kd
    .uniform_work_group_size: 1
    .uses_dynamic_stack: false
    .vgpr_count:     48
    .vgpr_spill_count: 0
    .wavefront_size: 32
    .workgroup_processor_mode: 1
  - .args:
      - .offset:         0
        .size:           4
        .value_kind:     by_value
      - .address_space:  global
        .offset:         8
        .size:           8
        .value_kind:     global_buffer
      - .address_space:  global
        .offset:         16
        .size:           8
        .value_kind:     global_buffer
      - .address_space:  global
        .offset:         24
        .size:           8
        .value_kind:     global_buffer
      - .offset:         32
        .size:           388
        .value_kind:     by_value
      - .offset:         420
        .size:           4
        .value_kind:     by_value
      - .offset:         424
        .size:           4
        .value_kind:     by_value
      - .offset:         428
        .size:           4
        .value_kind:     by_value
      - .offset:         432
        .size:           4
        .value_kind:     hidden_block_count_x
      - .offset:         436
        .size:           4
        .value_kind:     hidden_block_count_y
      - .offset:         440
        .size:           4
        .value_kind:     hidden_block_count_z
      - .offset:         444
        .size:           2
        .value_kind:     hidden_group_size_x
      - .offset:         446
        .size:           2
        .value_kind:     hidden_group_size_y
      - .offset:         448
        .size:           2
        .value_kind:     hidden_group_size_z
      - .offset:         450
        .size:           2
        .value_kind:     hidden_remainder_x
      - .offset:         452
        .size:           2
        .value_kind:     hidden_remainder_y
      - .offset:         454
        .size:           2
        .value_kind:     hidden_remainder_z
      - .offset:         472
        .size:           8
        .value_kind:     hidden_global_offset_x
      - .offset:         480
        .size:           8
        .value_kind:     hidden_global_offset_y
      - .offset:         488
        .size:           8
        .value_kind:     hidden_global_offset_z
      - .offset:         496
        .size:           2
        .value_kind:     hidden_grid_dims
    .group_segment_fixed_size: 0
    .kernarg_segment_align: 8
    .kernarg_segment_size: 688
    .language:       OpenCL C
    .language_version:
      - 2
      - 0
    .max_flat_workgroup_size: 1024
    .name:           _ZN2at6native12cross_kernelIN3c107complexIdEE16OffsetCalculatorILi3EjLb0EEiEEviPT_PKS7_SA_T0_T1_SC_SC_
    .private_segment_fixed_size: 0
    .sgpr_count:     54
    .sgpr_spill_count: 0
    .symbol:         _ZN2at6native12cross_kernelIN3c107complexIdEE16OffsetCalculatorILi3EjLb0EEiEEviPT_PKS7_SA_T0_T1_SC_SC_.kd
    .uniform_work_group_size: 1
    .uses_dynamic_stack: false
    .vgpr_count:     48
    .vgpr_spill_count: 0
    .wavefront_size: 32
    .workgroup_processor_mode: 1
  - .args:
      - .offset:         0
        .size:           4
        .value_kind:     by_value
      - .address_space:  global
        .offset:         8
        .size:           8
        .value_kind:     global_buffer
      - .address_space:  global
        .offset:         16
        .size:           8
        .value_kind:     global_buffer
      - .address_space:  global
        .offset:         24
        .size:           8
        .value_kind:     global_buffer
      - .offset:         32
        .size:           388
        .value_kind:     by_value
      - .offset:         424
        .size:           8
        .value_kind:     by_value
      - .offset:         432
        .size:           8
        .value_kind:     by_value
      - .offset:         440
        .size:           8
        .value_kind:     by_value
      - .offset:         448
        .size:           4
        .value_kind:     hidden_block_count_x
      - .offset:         452
        .size:           4
        .value_kind:     hidden_block_count_y
      - .offset:         456
        .size:           4
        .value_kind:     hidden_block_count_z
      - .offset:         460
        .size:           2
        .value_kind:     hidden_group_size_x
      - .offset:         462
        .size:           2
        .value_kind:     hidden_group_size_y
      - .offset:         464
        .size:           2
        .value_kind:     hidden_group_size_z
      - .offset:         466
        .size:           2
        .value_kind:     hidden_remainder_x
      - .offset:         468
        .size:           2
        .value_kind:     hidden_remainder_y
      - .offset:         470
        .size:           2
        .value_kind:     hidden_remainder_z
      - .offset:         488
        .size:           8
        .value_kind:     hidden_global_offset_x
      - .offset:         496
        .size:           8
        .value_kind:     hidden_global_offset_y
      - .offset:         504
        .size:           8
        .value_kind:     hidden_global_offset_z
      - .offset:         512
        .size:           2
        .value_kind:     hidden_grid_dims
    .group_segment_fixed_size: 0
    .kernarg_segment_align: 8
    .kernarg_segment_size: 704
    .language:       OpenCL C
    .language_version:
      - 2
      - 0
    .max_flat_workgroup_size: 1024
    .name:           _ZN2at6native12cross_kernelIN3c107complexIfEE16OffsetCalculatorILi3EjLb0EElEEviPT_PKS7_SA_T0_T1_SC_SC_
    .private_segment_fixed_size: 0
    .sgpr_count:     54
    .sgpr_spill_count: 0
    .symbol:         _ZN2at6native12cross_kernelIN3c107complexIfEE16OffsetCalculatorILi3EjLb0EElEEviPT_PKS7_SA_T0_T1_SC_SC_.kd
    .uniform_work_group_size: 1
    .uses_dynamic_stack: false
    .vgpr_count:     31
    .vgpr_spill_count: 0
    .wavefront_size: 32
    .workgroup_processor_mode: 1
  - .args:
      - .offset:         0
        .size:           4
        .value_kind:     by_value
      - .address_space:  global
        .offset:         8
        .size:           8
        .value_kind:     global_buffer
      - .address_space:  global
        .offset:         16
        .size:           8
        .value_kind:     global_buffer
      - .address_space:  global
        .offset:         24
        .size:           8
        .value_kind:     global_buffer
      - .offset:         32
        .size:           388
        .value_kind:     by_value
      - .offset:         420
        .size:           4
        .value_kind:     by_value
      - .offset:         424
        .size:           4
        .value_kind:     by_value
      - .offset:         428
        .size:           4
        .value_kind:     by_value
      - .offset:         432
        .size:           4
        .value_kind:     hidden_block_count_x
      - .offset:         436
        .size:           4
        .value_kind:     hidden_block_count_y
      - .offset:         440
        .size:           4
        .value_kind:     hidden_block_count_z
      - .offset:         444
        .size:           2
        .value_kind:     hidden_group_size_x
      - .offset:         446
        .size:           2
        .value_kind:     hidden_group_size_y
      - .offset:         448
        .size:           2
        .value_kind:     hidden_group_size_z
      - .offset:         450
        .size:           2
        .value_kind:     hidden_remainder_x
      - .offset:         452
        .size:           2
        .value_kind:     hidden_remainder_y
      - .offset:         454
        .size:           2
        .value_kind:     hidden_remainder_z
      - .offset:         472
        .size:           8
        .value_kind:     hidden_global_offset_x
      - .offset:         480
        .size:           8
        .value_kind:     hidden_global_offset_y
      - .offset:         488
        .size:           8
        .value_kind:     hidden_global_offset_z
      - .offset:         496
        .size:           2
        .value_kind:     hidden_grid_dims
    .group_segment_fixed_size: 0
    .kernarg_segment_align: 8
    .kernarg_segment_size: 688
    .language:       OpenCL C
    .language_version:
      - 2
      - 0
    .max_flat_workgroup_size: 1024
    .name:           _ZN2at6native12cross_kernelIN3c107complexIfEE16OffsetCalculatorILi3EjLb0EEiEEviPT_PKS7_SA_T0_T1_SC_SC_
    .private_segment_fixed_size: 0
    .sgpr_count:     54
    .sgpr_spill_count: 0
    .symbol:         _ZN2at6native12cross_kernelIN3c107complexIfEE16OffsetCalculatorILi3EjLb0EEiEEviPT_PKS7_SA_T0_T1_SC_SC_.kd
    .uniform_work_group_size: 1
    .uses_dynamic_stack: false
    .vgpr_count:     31
    .vgpr_spill_count: 0
    .wavefront_size: 32
    .workgroup_processor_mode: 1
  - .args:
      - .offset:         0
        .size:           4
        .value_kind:     by_value
      - .address_space:  global
        .offset:         8
        .size:           8
        .value_kind:     global_buffer
      - .address_space:  global
        .offset:         16
        .size:           8
        .value_kind:     global_buffer
      - .address_space:  global
        .offset:         24
        .size:           8
        .value_kind:     global_buffer
      - .offset:         32
        .size:           388
        .value_kind:     by_value
      - .offset:         424
        .size:           8
        .value_kind:     by_value
      - .offset:         432
        .size:           8
        .value_kind:     by_value
      - .offset:         440
        .size:           8
        .value_kind:     by_value
      - .offset:         448
        .size:           4
        .value_kind:     hidden_block_count_x
      - .offset:         452
        .size:           4
        .value_kind:     hidden_block_count_y
      - .offset:         456
        .size:           4
        .value_kind:     hidden_block_count_z
      - .offset:         460
        .size:           2
        .value_kind:     hidden_group_size_x
      - .offset:         462
        .size:           2
        .value_kind:     hidden_group_size_y
      - .offset:         464
        .size:           2
        .value_kind:     hidden_group_size_z
      - .offset:         466
        .size:           2
        .value_kind:     hidden_remainder_x
      - .offset:         468
        .size:           2
        .value_kind:     hidden_remainder_y
      - .offset:         470
        .size:           2
        .value_kind:     hidden_remainder_z
      - .offset:         488
        .size:           8
        .value_kind:     hidden_global_offset_x
      - .offset:         496
        .size:           8
        .value_kind:     hidden_global_offset_y
      - .offset:         504
        .size:           8
        .value_kind:     hidden_global_offset_z
      - .offset:         512
        .size:           2
        .value_kind:     hidden_grid_dims
    .group_segment_fixed_size: 0
    .kernarg_segment_align: 8
    .kernarg_segment_size: 704
    .language:       OpenCL C
    .language_version:
      - 2
      - 0
    .max_flat_workgroup_size: 1024
    .name:           _ZN2at6native12cross_kernelIN3c104HalfE16OffsetCalculatorILi3EjLb0EElEEviPT_PKS6_S9_T0_T1_SB_SB_
    .private_segment_fixed_size: 0
    .sgpr_count:     54
    .sgpr_spill_count: 0
    .symbol:         _ZN2at6native12cross_kernelIN3c104HalfE16OffsetCalculatorILi3EjLb0EElEEviPT_PKS6_S9_T0_T1_SB_SB_.kd
    .uniform_work_group_size: 1
    .uses_dynamic_stack: false
    .vgpr_count:     18
    .vgpr_spill_count: 0
    .wavefront_size: 32
    .workgroup_processor_mode: 1
  - .args:
      - .offset:         0
        .size:           4
        .value_kind:     by_value
      - .address_space:  global
        .offset:         8
        .size:           8
        .value_kind:     global_buffer
      - .address_space:  global
        .offset:         16
        .size:           8
        .value_kind:     global_buffer
      - .address_space:  global
        .offset:         24
        .size:           8
        .value_kind:     global_buffer
      - .offset:         32
        .size:           388
        .value_kind:     by_value
      - .offset:         420
        .size:           4
        .value_kind:     by_value
      - .offset:         424
        .size:           4
        .value_kind:     by_value
      - .offset:         428
        .size:           4
        .value_kind:     by_value
      - .offset:         432
        .size:           4
        .value_kind:     hidden_block_count_x
      - .offset:         436
        .size:           4
        .value_kind:     hidden_block_count_y
      - .offset:         440
        .size:           4
        .value_kind:     hidden_block_count_z
      - .offset:         444
        .size:           2
        .value_kind:     hidden_group_size_x
      - .offset:         446
        .size:           2
        .value_kind:     hidden_group_size_y
      - .offset:         448
        .size:           2
        .value_kind:     hidden_group_size_z
      - .offset:         450
        .size:           2
        .value_kind:     hidden_remainder_x
      - .offset:         452
        .size:           2
        .value_kind:     hidden_remainder_y
      - .offset:         454
        .size:           2
        .value_kind:     hidden_remainder_z
      - .offset:         472
        .size:           8
        .value_kind:     hidden_global_offset_x
      - .offset:         480
        .size:           8
        .value_kind:     hidden_global_offset_y
      - .offset:         488
        .size:           8
        .value_kind:     hidden_global_offset_z
      - .offset:         496
        .size:           2
        .value_kind:     hidden_grid_dims
    .group_segment_fixed_size: 0
    .kernarg_segment_align: 8
    .kernarg_segment_size: 688
    .language:       OpenCL C
    .language_version:
      - 2
      - 0
    .max_flat_workgroup_size: 1024
    .name:           _ZN2at6native12cross_kernelIN3c104HalfE16OffsetCalculatorILi3EjLb0EEiEEviPT_PKS6_S9_T0_T1_SB_SB_
    .private_segment_fixed_size: 0
    .sgpr_count:     54
    .sgpr_spill_count: 0
    .symbol:         _ZN2at6native12cross_kernelIN3c104HalfE16OffsetCalculatorILi3EjLb0EEiEEviPT_PKS6_S9_T0_T1_SB_SB_.kd
    .uniform_work_group_size: 1
    .uses_dynamic_stack: false
    .vgpr_count:     18
    .vgpr_spill_count: 0
    .wavefront_size: 32
    .workgroup_processor_mode: 1
  - .args:
      - .offset:         0
        .size:           4
        .value_kind:     by_value
      - .address_space:  global
        .offset:         8
        .size:           8
        .value_kind:     global_buffer
      - .address_space:  global
        .offset:         16
        .size:           8
        .value_kind:     global_buffer
      - .address_space:  global
        .offset:         24
        .size:           8
        .value_kind:     global_buffer
      - .offset:         32
        .size:           388
        .value_kind:     by_value
      - .offset:         424
        .size:           8
        .value_kind:     by_value
      - .offset:         432
        .size:           8
        .value_kind:     by_value
      - .offset:         440
        .size:           8
        .value_kind:     by_value
      - .offset:         448
        .size:           4
        .value_kind:     hidden_block_count_x
      - .offset:         452
        .size:           4
        .value_kind:     hidden_block_count_y
      - .offset:         456
        .size:           4
        .value_kind:     hidden_block_count_z
      - .offset:         460
        .size:           2
        .value_kind:     hidden_group_size_x
      - .offset:         462
        .size:           2
        .value_kind:     hidden_group_size_y
      - .offset:         464
        .size:           2
        .value_kind:     hidden_group_size_z
      - .offset:         466
        .size:           2
        .value_kind:     hidden_remainder_x
      - .offset:         468
        .size:           2
        .value_kind:     hidden_remainder_y
      - .offset:         470
        .size:           2
        .value_kind:     hidden_remainder_z
      - .offset:         488
        .size:           8
        .value_kind:     hidden_global_offset_x
      - .offset:         496
        .size:           8
        .value_kind:     hidden_global_offset_y
      - .offset:         504
        .size:           8
        .value_kind:     hidden_global_offset_z
      - .offset:         512
        .size:           2
        .value_kind:     hidden_grid_dims
    .group_segment_fixed_size: 0
    .kernarg_segment_align: 8
    .kernarg_segment_size: 704
    .language:       OpenCL C
    .language_version:
      - 2
      - 0
    .max_flat_workgroup_size: 1024
    .name:           _ZN2at6native12cross_kernelIN3c108BFloat16E16OffsetCalculatorILi3EjLb0EElEEviPT_PKS6_S9_T0_T1_SB_SB_
    .private_segment_fixed_size: 0
    .sgpr_count:     54
    .sgpr_spill_count: 0
    .symbol:         _ZN2at6native12cross_kernelIN3c108BFloat16E16OffsetCalculatorILi3EjLb0EElEEviPT_PKS6_S9_T0_T1_SB_SB_.kd
    .uniform_work_group_size: 1
    .uses_dynamic_stack: false
    .vgpr_count:     16
    .vgpr_spill_count: 0
    .wavefront_size: 32
    .workgroup_processor_mode: 1
  - .args:
      - .offset:         0
        .size:           4
        .value_kind:     by_value
      - .address_space:  global
        .offset:         8
        .size:           8
        .value_kind:     global_buffer
      - .address_space:  global
        .offset:         16
        .size:           8
        .value_kind:     global_buffer
      - .address_space:  global
        .offset:         24
        .size:           8
        .value_kind:     global_buffer
      - .offset:         32
        .size:           388
        .value_kind:     by_value
      - .offset:         420
        .size:           4
        .value_kind:     by_value
      - .offset:         424
        .size:           4
        .value_kind:     by_value
      - .offset:         428
        .size:           4
        .value_kind:     by_value
      - .offset:         432
        .size:           4
        .value_kind:     hidden_block_count_x
      - .offset:         436
        .size:           4
        .value_kind:     hidden_block_count_y
      - .offset:         440
        .size:           4
        .value_kind:     hidden_block_count_z
      - .offset:         444
        .size:           2
        .value_kind:     hidden_group_size_x
      - .offset:         446
        .size:           2
        .value_kind:     hidden_group_size_y
      - .offset:         448
        .size:           2
        .value_kind:     hidden_group_size_z
      - .offset:         450
        .size:           2
        .value_kind:     hidden_remainder_x
      - .offset:         452
        .size:           2
        .value_kind:     hidden_remainder_y
      - .offset:         454
        .size:           2
        .value_kind:     hidden_remainder_z
      - .offset:         472
        .size:           8
        .value_kind:     hidden_global_offset_x
      - .offset:         480
        .size:           8
        .value_kind:     hidden_global_offset_y
      - .offset:         488
        .size:           8
        .value_kind:     hidden_global_offset_z
      - .offset:         496
        .size:           2
        .value_kind:     hidden_grid_dims
    .group_segment_fixed_size: 0
    .kernarg_segment_align: 8
    .kernarg_segment_size: 688
    .language:       OpenCL C
    .language_version:
      - 2
      - 0
    .max_flat_workgroup_size: 1024
    .name:           _ZN2at6native12cross_kernelIN3c108BFloat16E16OffsetCalculatorILi3EjLb0EEiEEviPT_PKS6_S9_T0_T1_SB_SB_
    .private_segment_fixed_size: 0
    .sgpr_count:     54
    .sgpr_spill_count: 0
    .symbol:         _ZN2at6native12cross_kernelIN3c108BFloat16E16OffsetCalculatorILi3EjLb0EEiEEviPT_PKS6_S9_T0_T1_SB_SB_.kd
    .uniform_work_group_size: 1
    .uses_dynamic_stack: false
    .vgpr_count:     16
    .vgpr_spill_count: 0
    .wavefront_size: 32
    .workgroup_processor_mode: 1
amdhsa.target:   amdgcn-amd-amdhsa--gfx1100
amdhsa.version:
  - 1
  - 2
...

	.end_amdgpu_metadata
